;; amdgpu-corpus repo=ROCm/rocFFT kind=compiled arch=gfx1201 opt=O3
	.text
	.amdgcn_target "amdgcn-amd-amdhsa--gfx1201"
	.amdhsa_code_object_version 6
	.protected	bluestein_single_back_len1512_dim1_dp_op_CI_CI ; -- Begin function bluestein_single_back_len1512_dim1_dp_op_CI_CI
	.globl	bluestein_single_back_len1512_dim1_dp_op_CI_CI
	.p2align	8
	.type	bluestein_single_back_len1512_dim1_dp_op_CI_CI,@function
bluestein_single_back_len1512_dim1_dp_op_CI_CI: ; @bluestein_single_back_len1512_dim1_dp_op_CI_CI
; %bb.0:
	s_load_b128 s[12:15], s[0:1], 0x28
	v_mul_u32_u24_e32 v1, 0x411, v0
	s_mov_b32 s2, exec_lo
	v_mov_b32_e32 v5, 0
	s_delay_alu instid0(VALU_DEP_2) | instskip(NEXT) | instid1(VALU_DEP_1)
	v_lshrrev_b32_e32 v1, 16, v1
	v_add_nc_u32_e32 v4, ttmp9, v1
	s_wait_kmcnt 0x0
	s_delay_alu instid0(VALU_DEP_1)
	v_cmpx_gt_u64_e64 s[12:13], v[4:5]
	s_cbranch_execz .LBB0_10
; %bb.1:
	s_clause 0x1
	s_load_b128 s[4:7], s[0:1], 0x18
	s_load_b128 s[8:11], s[0:1], 0x0
	v_mul_lo_u16 v1, v1, 63
	s_mov_b32 s13, 0xbfebb67a
                                        ; implicit-def: $vgpr236_vgpr237
                                        ; implicit-def: $vgpr240_vgpr241
	s_delay_alu instid0(VALU_DEP_1) | instskip(NEXT) | instid1(VALU_DEP_1)
	v_sub_nc_u16 v184, v0, v1
	v_and_b32_e32 v97, 0xffff, v184
	s_delay_alu instid0(VALU_DEP_1)
	v_dual_mov_b32 v5, v4 :: v_dual_lshlrev_b32 v96, 4, v97
	scratch_store_b64 off, v[5:6], off      ; 8-byte Folded Spill
	v_add_co_u32 v181, null, 0x7e, v97
	s_wait_kmcnt 0x0
	s_load_b128 s[16:19], s[4:5], 0x0
	global_load_b128 v[60:63], v96, s[8:9]
	s_movk_i32 s4, 0xd4b0
	s_mov_b32 s5, -1
	v_and_b32_e32 v113, 1, v97
	v_and_b32_e32 v123, 3, v97
	;; [unrolled: 1-line block ×3, first 2 shown]
	s_wait_kmcnt 0x0
	v_mad_co_u64_u32 v[0:1], null, s18, v4, 0
	v_mad_co_u64_u32 v[2:3], null, s16, v97, 0
	s_mul_u64 s[2:3], s[16:17], 0x2f40
	s_mul_u64 s[4:5], s[16:17], s[4:5]
	s_delay_alu instid0(VALU_DEP_1) | instskip(NEXT) | instid1(VALU_DEP_1)
	v_mad_co_u64_u32 v[4:5], null, s19, v4, v[1:2]
	v_mad_co_u64_u32 v[5:6], null, s17, v97, v[3:4]
	v_mov_b32_e32 v1, v4
	s_delay_alu instid0(VALU_DEP_1) | instskip(NEXT) | instid1(VALU_DEP_3)
	v_lshlrev_b64_e32 v[0:1], 4, v[0:1]
	v_mov_b32_e32 v3, v5
	s_delay_alu instid0(VALU_DEP_2) | instskip(NEXT) | instid1(VALU_DEP_2)
	v_add_co_u32 v0, vcc_lo, s14, v0
	v_lshlrev_b64_e32 v[2:3], 4, v[2:3]
	s_delay_alu instid0(VALU_DEP_4) | instskip(NEXT) | instid1(VALU_DEP_2)
	v_add_co_ci_u32_e32 v1, vcc_lo, s15, v1, vcc_lo
	v_add_co_u32 v0, vcc_lo, v0, v2
	s_wait_alu 0xfffd
	s_delay_alu instid0(VALU_DEP_2) | instskip(NEXT) | instid1(VALU_DEP_2)
	v_add_co_ci_u32_e32 v1, vcc_lo, v1, v3, vcc_lo
	v_add_co_u32 v8, vcc_lo, v0, s2
	s_wait_alu 0xfffd
	s_delay_alu instid0(VALU_DEP_2)
	v_add_co_ci_u32_e32 v9, vcc_lo, s3, v1, vcc_lo
	global_load_b128 v[0:3], v[0:1], off
	global_load_b128 v[68:71], v96, s[8:9] offset:12096
	global_load_b128 v[4:7], v[8:9], off
	v_add_co_u32 v8, vcc_lo, v8, s4
	s_wait_alu 0xfffd
	v_add_co_ci_u32_e32 v9, vcc_lo, s5, v9, vcc_lo
	global_load_b128 v[72:75], v96, s[8:9] offset:1008
	v_add_co_u32 v16, vcc_lo, v8, s2
	s_wait_alu 0xfffd
	v_add_co_ci_u32_e32 v17, vcc_lo, s3, v9, vcc_lo
	global_load_b128 v[8:11], v[8:9], off
	global_load_b128 v[76:79], v96, s[8:9] offset:13104
	global_load_b128 v[12:15], v[16:17], off
	v_add_co_u32 v16, vcc_lo, v16, s4
	s_wait_alu 0xfffd
	v_add_co_ci_u32_e32 v17, vcc_lo, s5, v17, vcc_lo
	global_load_b128 v[80:83], v96, s[8:9] offset:2016
	v_add_co_u32 v24, vcc_lo, v16, s2
	s_wait_alu 0xfffd
	;; [unrolled: 10-line block ×5, first 2 shown]
	v_add_co_ci_u32_e32 v49, vcc_lo, s3, v41, vcc_lo
	global_load_b128 v[40:43], v[40:41], off
	global_load_b128 v[98:101], v96, s[8:9] offset:17136
	global_load_b128 v[44:47], v[48:49], off
	s_wait_loadcnt 0x17
	scratch_store_b128 off, v[60:63], off offset:8 ; 16-byte Folded Spill
	s_wait_loadcnt 0x16
	v_mul_f64_e32 v[50:51], v[2:3], v[62:63]
	v_mul_f64_e32 v[52:53], v[0:1], v[62:63]
	s_wait_loadcnt 0x14
	v_mul_f64_e32 v[54:55], v[6:7], v[70:71]
	v_mul_f64_e32 v[56:57], v[4:5], v[70:71]
	scratch_store_b128 off, v[68:71], off offset:152 ; 16-byte Folded Spill
	s_wait_loadcnt 0x13
	scratch_store_b128 off, v[72:75], off offset:184 ; 16-byte Folded Spill
	s_wait_loadcnt 0x12
	v_mul_f64_e32 v[58:59], v[10:11], v[74:75]
	s_wait_loadcnt 0x11
	scratch_store_b128 off, v[76:79], off offset:200 ; 16-byte Folded Spill
	s_wait_loadcnt 0xf
	scratch_store_b128 off, v[80:83], off offset:216 ; 16-byte Folded Spill
	;; [unrolled: 2-line block ×5, first 2 shown]
	v_fma_f64 v[0:1], v[0:1], v[60:61], v[50:51]
	v_mul_f64_e32 v[50:51], v[8:9], v[74:75]
	s_wait_loadcnt 0x7
	scratch_store_b128 off, v[106:109], off offset:360 ; 16-byte Folded Spill
	v_fma_f64 v[2:3], v[2:3], v[60:61], -v[52:53]
	v_mul_f64_e32 v[52:53], v[14:15], v[78:79]
	v_fma_f64 v[4:5], v[4:5], v[68:69], v[54:55]
	v_mul_f64_e32 v[54:55], v[12:13], v[78:79]
	v_fma_f64 v[6:7], v[6:7], v[68:69], -v[56:57]
	v_mul_f64_e32 v[56:57], v[18:19], v[82:83]
	s_wait_loadcnt 0x5
	scratch_store_b128 off, v[88:91], off offset:296 ; 16-byte Folded Spill
	v_fma_f64 v[8:9], v[8:9], v[72:73], v[58:59]
	v_mul_f64_e32 v[58:59], v[22:23], v[66:67]
	s_wait_loadcnt 0x3
	scratch_store_b128 off, v[84:87], off offset:280 ; 16-byte Folded Spill
	s_wait_loadcnt 0x1
	scratch_store_b128 off, v[98:101], off offset:328 ; 16-byte Folded Spill
	v_fma_f64 v[10:11], v[10:11], v[72:73], -v[50:51]
	v_mul_f64_e32 v[50:51], v[16:17], v[82:83]
	v_fma_f64 v[12:13], v[12:13], v[76:77], v[52:53]
	v_mul_f64_e32 v[52:53], v[20:21], v[66:67]
	v_fma_f64 v[14:15], v[14:15], v[76:77], -v[54:55]
	v_mul_f64_e32 v[54:55], v[26:27], v[94:95]
	v_fma_f64 v[16:17], v[16:17], v[80:81], v[56:57]
	v_mul_f64_e32 v[56:57], v[30:31], v[104:105]
	v_fma_f64 v[20:21], v[20:21], v[64:65], v[58:59]
	v_mul_f64_e32 v[58:59], v[34:35], v[108:109]
	v_fma_f64 v[18:19], v[18:19], v[80:81], -v[50:51]
	v_mul_f64_e32 v[50:51], v[24:25], v[94:95]
	v_fma_f64 v[22:23], v[22:23], v[64:65], -v[52:53]
	v_mul_f64_e32 v[52:53], v[28:29], v[104:105]
	v_fma_f64 v[24:25], v[24:25], v[92:93], v[54:55]
	v_mul_f64_e32 v[54:55], v[38:39], v[90:91]
	v_fma_f64 v[28:29], v[28:29], v[102:103], v[56:57]
	v_mul_f64_e32 v[56:57], v[42:43], v[86:87]
	v_fma_f64 v[26:27], v[26:27], v[92:93], -v[50:51]
	v_mul_f64_e32 v[50:51], v[32:33], v[108:109]
	v_fma_f64 v[32:33], v[32:33], v[106:107], v[58:59]
	v_fma_f64 v[30:31], v[30:31], v[102:103], -v[52:53]
	v_mul_f64_e32 v[52:53], v[36:37], v[90:91]
	s_wait_loadcnt 0x0
	v_mul_f64_e32 v[58:59], v[46:47], v[100:101]
	v_fma_f64 v[36:37], v[36:37], v[88:89], v[54:55]
	v_add_co_u32 v54, vcc_lo, v48, s4
	s_wait_alu 0xfffd
	v_add_co_ci_u32_e32 v55, vcc_lo, s5, v49, vcc_lo
	v_fma_f64 v[34:35], v[34:35], v[106:107], -v[50:51]
	v_mul_f64_e32 v[50:51], v[40:41], v[86:87]
	v_fma_f64 v[40:41], v[40:41], v[84:85], v[56:57]
	v_fma_f64 v[38:39], v[38:39], v[88:89], -v[52:53]
	v_mul_f64_e32 v[52:53], v[44:45], v[100:101]
	v_fma_f64 v[44:45], v[44:45], v[98:99], v[58:59]
	v_fma_f64 v[42:43], v[42:43], v[84:85], -v[50:51]
	global_load_b128 v[48:51], v[54:55], off
	s_clause 0x1
	global_load_b128 v[58:61], v96, s[8:9] offset:6048
	global_load_b128 v[66:69], v96, s[8:9] offset:7056
	v_fma_f64 v[46:47], v[46:47], v[98:99], -v[52:53]
	s_wait_loadcnt 0x1
	scratch_store_b128 off, v[58:61], off offset:376 ; 16-byte Folded Spill
	v_mul_f64_e32 v[56:57], v[48:49], v[60:61]
	v_mul_f64_e32 v[52:53], v[50:51], v[60:61]
	s_delay_alu instid0(VALU_DEP_2) | instskip(SKIP_3) | instid1(VALU_DEP_4)
	v_fma_f64 v[50:51], v[50:51], v[58:59], -v[56:57]
	v_add_co_u32 v56, vcc_lo, v54, s2
	s_wait_alu 0xfffd
	v_add_co_ci_u32_e32 v57, vcc_lo, s3, v55, vcc_lo
	v_fma_f64 v[48:49], v[48:49], v[58:59], v[52:53]
	global_load_b128 v[52:55], v[56:57], off
	s_clause 0x1
	global_load_b128 v[62:65], v96, s[8:9] offset:18144
	global_load_b128 v[70:73], v96, s[8:9] offset:19152
	s_wait_loadcnt 0x3
	scratch_store_b128 off, v[66:69], off offset:24 ; 16-byte Folded Spill
	s_wait_loadcnt 0x1
	v_mul_f64_e32 v[60:61], v[52:53], v[64:65]
	v_mul_f64_e32 v[58:59], v[54:55], v[64:65]
	scratch_store_b128 off, v[62:65], off offset:56 ; 16-byte Folded Spill
	s_wait_loadcnt 0x0
	scratch_store_b128 off, v[70:73], off offset:72 ; 16-byte Folded Spill
	v_fma_f64 v[54:55], v[54:55], v[62:63], -v[60:61]
	v_add_co_u32 v60, vcc_lo, v56, s4
	s_wait_alu 0xfffd
	v_add_co_ci_u32_e32 v61, vcc_lo, s5, v57, vcc_lo
	v_fma_f64 v[52:53], v[52:53], v[62:63], v[58:59]
	global_load_b128 v[56:59], v[60:61], off
	s_wait_loadcnt 0x0
	v_mul_f64_e32 v[64:65], v[56:57], v[68:69]
	v_mul_f64_e32 v[62:63], v[58:59], v[68:69]
	s_delay_alu instid0(VALU_DEP_2) | instskip(SKIP_3) | instid1(VALU_DEP_4)
	v_fma_f64 v[58:59], v[58:59], v[66:67], -v[64:65]
	v_add_co_u32 v64, vcc_lo, v60, s2
	s_wait_alu 0xfffd
	v_add_co_ci_u32_e32 v65, vcc_lo, s3, v61, vcc_lo
	v_fma_f64 v[56:57], v[56:57], v[66:67], v[62:63]
	global_load_b128 v[60:63], v[64:65], off
	s_wait_loadcnt 0x0
	v_mul_f64_e32 v[68:69], v[60:61], v[72:73]
	v_mul_f64_e32 v[66:67], v[62:63], v[72:73]
	s_delay_alu instid0(VALU_DEP_2) | instskip(SKIP_3) | instid1(VALU_DEP_4)
	v_fma_f64 v[62:63], v[62:63], v[70:71], -v[68:69]
	v_add_co_u32 v68, vcc_lo, v64, s4
	s_wait_alu 0xfffd
	v_add_co_ci_u32_e32 v69, vcc_lo, s5, v65, vcc_lo
	v_fma_f64 v[60:61], v[60:61], v[70:71], v[66:67]
	global_load_b128 v[64:67], v[68:69], off
	s_clause 0x1
	global_load_b128 v[74:77], v96, s[8:9] offset:8064
	global_load_b128 v[82:85], v96, s[8:9] offset:9072
	s_wait_loadcnt 0x1
	v_mul_f64_e32 v[72:73], v[64:65], v[76:77]
	v_mul_f64_e32 v[70:71], v[66:67], v[76:77]
	scratch_store_b128 off, v[74:77], off offset:88 ; 16-byte Folded Spill
	v_fma_f64 v[66:67], v[66:67], v[74:75], -v[72:73]
	v_add_co_u32 v72, vcc_lo, v68, s2
	s_wait_alu 0xfffd
	v_add_co_ci_u32_e32 v73, vcc_lo, s3, v69, vcc_lo
	v_fma_f64 v[64:65], v[64:65], v[74:75], v[70:71]
	global_load_b128 v[68:71], v[72:73], off
	s_clause 0x1
	global_load_b128 v[78:81], v96, s[8:9] offset:20160
	global_load_b128 v[86:89], v96, s[8:9] offset:21168
	s_wait_loadcnt 0x3
	scratch_store_b128 off, v[82:85], off offset:104 ; 16-byte Folded Spill
	s_wait_loadcnt 0x1
	v_mul_f64_e32 v[76:77], v[68:69], v[80:81]
	v_mul_f64_e32 v[74:75], v[70:71], v[80:81]
	scratch_store_b128 off, v[78:81], off offset:120 ; 16-byte Folded Spill
	s_wait_loadcnt 0x0
	scratch_store_b128 off, v[86:89], off offset:136 ; 16-byte Folded Spill
	v_fma_f64 v[70:71], v[70:71], v[78:79], -v[76:77]
	v_add_co_u32 v76, vcc_lo, v72, s4
	s_wait_alu 0xfffd
	v_add_co_ci_u32_e32 v77, vcc_lo, s5, v73, vcc_lo
	v_fma_f64 v[68:69], v[68:69], v[78:79], v[74:75]
	global_load_b128 v[72:75], v[76:77], off
	s_wait_loadcnt 0x0
	v_mul_f64_e32 v[80:81], v[72:73], v[84:85]
	v_mul_f64_e32 v[78:79], v[74:75], v[84:85]
	s_delay_alu instid0(VALU_DEP_2) | instskip(SKIP_3) | instid1(VALU_DEP_4)
	v_fma_f64 v[74:75], v[74:75], v[82:83], -v[80:81]
	v_add_co_u32 v80, vcc_lo, v76, s2
	s_wait_alu 0xfffd
	v_add_co_ci_u32_e32 v81, vcc_lo, s3, v77, vcc_lo
	v_fma_f64 v[72:73], v[72:73], v[82:83], v[78:79]
	global_load_b128 v[76:79], v[80:81], off
	s_wait_loadcnt 0x0
	v_mul_f64_e32 v[84:85], v[76:77], v[88:89]
	v_mul_f64_e32 v[82:83], v[78:79], v[88:89]
	s_delay_alu instid0(VALU_DEP_2) | instskip(SKIP_3) | instid1(VALU_DEP_4)
	v_fma_f64 v[78:79], v[78:79], v[86:87], -v[84:85]
	v_add_co_u32 v84, vcc_lo, v80, s4
	s_wait_alu 0xfffd
	v_add_co_ci_u32_e32 v85, vcc_lo, s5, v81, vcc_lo
	v_fma_f64 v[76:77], v[76:77], v[86:87], v[82:83]
	global_load_b128 v[80:83], v[84:85], off
	s_clause 0x1
	global_load_b128 v[90:93], v96, s[8:9] offset:10080
	global_load_b128 v[100:103], v96, s[8:9] offset:11088
	s_wait_loadcnt 0x1
	v_mul_f64_e32 v[88:89], v[80:81], v[92:93]
	v_mul_f64_e32 v[86:87], v[82:83], v[92:93]
	scratch_store_b128 off, v[90:93], off offset:168 ; 16-byte Folded Spill
	v_fma_f64 v[82:83], v[82:83], v[90:91], -v[88:89]
	v_add_co_u32 v88, vcc_lo, v84, s2
	s_wait_alu 0xfffd
	v_add_co_ci_u32_e32 v89, vcc_lo, s3, v85, vcc_lo
	v_fma_f64 v[80:81], v[80:81], v[90:91], v[86:87]
	global_load_b128 v[84:87], v[88:89], off
	s_clause 0x1
	global_load_b128 v[104:107], v96, s[8:9] offset:22176
	global_load_b128 v[108:111], v96, s[8:9] offset:23184
	s_wait_loadcnt 0x3
	scratch_store_b128 off, v[100:103], off offset:232 ; 16-byte Folded Spill
	s_wait_loadcnt 0x1
	v_mul_f64_e32 v[92:93], v[84:85], v[106:107]
	v_mul_f64_e32 v[90:91], v[86:87], v[106:107]
	scratch_store_b128 off, v[104:107], off offset:248 ; 16-byte Folded Spill
	s_wait_loadcnt 0x0
	scratch_store_b128 off, v[108:111], off offset:264 ; 16-byte Folded Spill
	v_fma_f64 v[86:87], v[86:87], v[104:105], -v[92:93]
	v_add_co_u32 v92, vcc_lo, v88, s4
	s_wait_alu 0xfffd
	v_add_co_ci_u32_e32 v93, vcc_lo, s5, v89, vcc_lo
	v_fma_f64 v[84:85], v[84:85], v[104:105], v[90:91]
	global_load_b128 v[88:91], v[92:93], off
	v_add_co_u32 v92, vcc_lo, v92, s2
	s_wait_alu 0xfffd
	v_add_co_ci_u32_e32 v93, vcc_lo, s3, v93, vcc_lo
	v_add_co_u32 v180, s2, v97, 63
	v_cmp_gt_u16_e64 vcc_lo, 9, v184
	v_lshlrev_b32_e32 v223, 5, v97
	s_wait_alu 0xf1ff
	v_add_co_ci_u32_e64 v182, null, 0, 0, s2
	v_and_b32_e32 v112, 1, v180
	v_lshlrev_b32_e32 v119, 1, v180
	s_mov_b32 s2, 0xe8584caa
	s_mov_b32 s3, 0x3febb67a
	s_wait_alu 0xfffe
	s_mov_b32 s12, s2
	s_wait_loadcnt 0x0
	v_mul_f64_e32 v[94:95], v[90:91], v[102:103]
	v_mul_f64_e32 v[98:99], v[88:89], v[102:103]
	s_delay_alu instid0(VALU_DEP_2)
	v_fma_f64 v[88:89], v[88:89], v[100:101], v[94:95]
	global_load_b128 v[92:95], v[92:93], off
	v_fma_f64 v[90:91], v[90:91], v[100:101], -v[98:99]
	ds_store_b128 v96, v[0:3]
	ds_store_b128 v96, v[8:11] offset:1008
	ds_store_b128 v96, v[4:7] offset:12096
	ds_store_b128 v96, v[12:15] offset:13104
	ds_store_b128 v96, v[16:19] offset:2016
	ds_store_b128 v96, v[24:27] offset:3024
	ds_store_b128 v96, v[20:23] offset:14112
	ds_store_b128 v96, v[28:31] offset:15120
	ds_store_b128 v96, v[32:35] offset:4032
	ds_store_b128 v96, v[40:43] offset:5040
	ds_store_b128 v96, v[36:39] offset:16128
	ds_store_b128 v96, v[44:47] offset:17136
	ds_store_b128 v96, v[48:51] offset:6048
	ds_store_b128 v96, v[56:59] offset:7056
	ds_store_b128 v96, v[52:55] offset:18144
	ds_store_b128 v96, v[60:63] offset:19152
	ds_store_b128 v96, v[64:67] offset:8064
	ds_store_b128 v96, v[72:75] offset:9072
	ds_store_b128 v96, v[68:71] offset:20160
	ds_store_b128 v96, v[76:79] offset:21168
	ds_store_b128 v96, v[80:83] offset:10080
	s_load_b128 s[4:7], s[6:7], 0x0
	s_wait_loadcnt 0x0
	v_mul_f64_e32 v[98:99], v[94:95], v[110:111]
	v_mul_f64_e32 v[100:101], v[92:93], v[110:111]
	v_add_nc_u32_e32 v110, 0x276, v97
	v_add_nc_u32_e32 v111, 0x2b5, v97
	s_delay_alu instid0(VALU_DEP_1)
	v_and_b32_e32 v114, 1, v111
	v_fma_f64 v[92:93], v[92:93], v[108:109], v[98:99]
	v_fma_f64 v[94:95], v[94:95], v[108:109], -v[100:101]
	v_add_nc_u32_e32 v109, 0x237, v97
	ds_store_b128 v96, v[88:91] offset:11088
	ds_store_b128 v96, v[84:87] offset:22176
	;; [unrolled: 1-line block ×3, first 2 shown]
	global_wb scope:SCOPE_SE
	s_wait_storecnt_dscnt 0x0
	s_wait_kmcnt 0x0
	s_barrier_signal -1
	s_barrier_wait -1
	global_inv scope:SCOPE_SE
	ds_load_b128 v[0:3], v96 offset:12096
	ds_load_b128 v[40:43], v96
	ds_load_b128 v[44:47], v96 offset:1008
	ds_load_b128 v[4:7], v96 offset:13104
	v_and_b32_e32 v118, 1, v109
	s_wait_dscnt 0x2
	v_add_f64_e64 v[88:89], v[40:41], -v[0:1]
	v_add_f64_e64 v[90:91], v[42:43], -v[2:3]
	s_wait_dscnt 0x0
	v_add_f64_e64 v[0:1], v[44:45], -v[4:5]
	v_add_f64_e64 v[2:3], v[46:47], -v[6:7]
	ds_load_b128 v[4:7], v96 offset:14112
	ds_load_b128 v[48:51], v96 offset:2016
	;; [unrolled: 1-line block ×16, first 2 shown]
	s_wait_dscnt 0xe
	v_add_f64_e64 v[4:5], v[48:49], -v[4:5]
	v_add_f64_e64 v[6:7], v[50:51], -v[6:7]
	s_wait_dscnt 0xc
	v_add_f64_e64 v[8:9], v[52:53], -v[8:9]
	v_add_f64_e64 v[10:11], v[54:55], -v[10:11]
	;; [unrolled: 3-line block ×5, first 2 shown]
	v_add_f64_e64 v[22:23], v[66:67], -v[22:23]
	v_add_f64_e64 v[24:25], v[92:93], -v[24:25]
	;; [unrolled: 1-line block ×4, first 2 shown]
	v_fma_f64 v[102:103], v[40:41], 2.0, -v[88:89]
	v_fma_f64 v[104:105], v[42:43], 2.0, -v[90:91]
	;; [unrolled: 1-line block ×12, first 2 shown]
	ds_load_b128 v[44:47], v96 offset:10080
	ds_load_b128 v[40:43], v96 offset:11088
	;; [unrolled: 1-line block ×4, first 2 shown]
	global_wb scope:SCOPE_SE
	s_wait_dscnt 0x0
	s_barrier_signal -1
	s_barrier_wait -1
	global_inv scope:SCOPE_SE
	ds_store_b128 v223, v[88:91] offset:16
	ds_store_b128 v223, v[102:105]
	v_lshlrev_b32_e32 v88, 5, v180
	v_fma_f64 v[56:57], v[98:99], 2.0, -v[28:29]
	v_add_co_u32 v99, null, 0xbd, v97
	v_fma_f64 v[64:65], v[64:65], 2.0, -v[20:21]
	ds_store_b128 v88, v[84:87]
	ds_store_b128 v88, v[0:3] offset:16
	v_lshlrev_b32_e32 v0, 5, v181
	v_fma_f64 v[66:67], v[66:67], 2.0, -v[22:23]
	v_fma_f64 v[60:61], v[92:93], 2.0, -v[24:25]
	;; [unrolled: 1-line block ×3, first 2 shown]
	v_add_co_u32 v3, null, 0x17a, v97
	scratch_store_b32 off, v0, off offset:1656 ; 4-byte Folded Spill
	ds_store_b128 v0, v[4:7] offset:16
	v_add_co_u32 v5, null, 0xfc, v97
	v_add_co_u32 v4, null, 0x13b, v97
	v_add_f64_e64 v[6:7], v[32:33], -v[36:37]
	v_add_co_u32 v2, null, 0x1b9, v97
	ds_store_b128 v0, v[80:83]
	v_lshlrev_b32_e32 v0, 5, v99
	v_fma_f64 v[58:59], v[100:101], 2.0, -v[30:31]
	v_lshlrev_b32_e32 v98, 1, v97
	v_and_b32_e32 v115, 1, v99
	v_and_b32_e32 v116, 1, v4
	ds_store_b128 v0, v[76:79]
	ds_store_b128 v0, v[8:11] offset:16
	scratch_store_b32 off, v0, off offset:1652 ; 4-byte Folded Spill
	v_lshlrev_b32_e32 v0, 5, v5
	v_add_f64_e64 v[8:9], v[34:35], -v[38:39]
	v_add_f64_e64 v[10:11], v[44:45], -v[52:53]
	v_add_nc_u32_e32 v108, 0x3f0, v98
	v_and_b32_e32 v117, 1, v2
	ds_store_b128 v0, v[72:75]
	ds_store_b128 v0, v[12:15] offset:16
	v_add_f64_e64 v[12:13], v[46:47], -v[54:55]
	scratch_store_b32 off, v0, off offset:1648 ; 4-byte Folded Spill
	v_lshlrev_b32_e32 v0, 5, v4
	v_add_f64_e64 v[14:15], v[40:41], -v[48:49]
	v_lshlrev_b32_e32 v1, 4, v108
	v_lshlrev_b32_e32 v120, 1, v99
	;; [unrolled: 1-line block ×3, first 2 shown]
	ds_store_b128 v0, v[68:71]
	ds_store_b128 v0, v[16:19] offset:16
	v_add_f64_e64 v[16:17], v[42:43], -v[50:51]
	scratch_store_b32 off, v0, off offset:1644 ; 4-byte Folded Spill
	v_lshlrev_b32_e32 v0, 5, v3
	v_lshlrev_b32_e32 v122, 1, v2
	v_and_b32_e32 v125, 3, v99
	v_and_b32_e32 v126, 3, v4
	;; [unrolled: 1-line block ×3, first 2 shown]
	ds_store_b128 v0, v[64:67]
	ds_store_b128 v0, v[20:23] offset:16
	scratch_store_b32 off, v0, off offset:1640 ; 4-byte Folded Spill
	v_lshlrev_b32_e32 v0, 5, v2
	v_fma_f64 v[18:19], v[32:33], 2.0, -v[6:7]
	v_and_b32_e32 v183, 3, v2
	ds_store_b128 v0, v[60:63]
	ds_store_b128 v0, v[24:27] offset:16
	scratch_store_b32 off, v0, off offset:1636 ; 4-byte Folded Spill
	v_lshlrev_b32_e32 v0, 4, v98
	ds_store_b128 v1, v[28:31] offset:16
	v_fma_f64 v[20:21], v[34:35], 2.0, -v[8:9]
	v_fma_f64 v[22:23], v[44:45], 2.0, -v[10:11]
	ds_store_b128 v0, v[56:59] offset:16128
	v_lshlrev_b32_e32 v0, 5, v109
	s_clause 0x1
	scratch_store_b32 off, v1, off offset:1628
	scratch_store_b32 off, v88, off offset:1660
	v_fma_f64 v[24:25], v[46:47], 2.0, -v[12:13]
	v_lshlrev_b32_e32 v1, 4, v113
	scratch_store_b32 off, v0, off offset:1632 ; 4-byte Folded Spill
	v_fma_f64 v[32:33], v[40:41], 2.0, -v[14:15]
	ds_store_b128 v0, v[6:9] offset:16
	ds_store_b128 v223, v[18:21] offset:18144
	;; [unrolled: 1-line block ×3, first 2 shown]
	v_fma_f64 v[34:35], v[42:43], 2.0, -v[16:17]
	v_lshlrev_b32_e32 v0, 5, v110
	scratch_store_b32 off, v0, off offset:1624 ; 4-byte Folded Spill
	ds_store_b128 v0, v[10:13] offset:16
	v_lshlrev_b32_e32 v0, 5, v111
	scratch_store_b32 off, v0, off offset:1620 ; 4-byte Folded Spill
	ds_store_b128 v0, v[14:17] offset:16
	v_lshlrev_b32_e32 v0, 4, v112
	ds_store_b128 v223, v[32:35] offset:22176
	global_wb scope:SCOPE_SE
	s_wait_storecnt_dscnt 0x0
	s_barrier_signal -1
	s_barrier_wait -1
	global_inv scope:SCOPE_SE
	s_clause 0x1
	global_load_b64 v[14:15], v0, s[10:11]
	global_load_b128 v[156:159], v1, s[10:11]
	ds_load_b128 v[6:9], v96 offset:12096
	ds_load_b128 v[10:13], v96 offset:13104
	s_wait_loadcnt_dscnt 0x1
	v_mul_f64_e32 v[0:1], v[8:9], v[158:159]
	s_delay_alu instid0(VALU_DEP_1) | instskip(SKIP_1) | instid1(VALU_DEP_1)
	v_fma_f64 v[0:1], v[6:7], v[156:157], -v[0:1]
	v_mul_f64_e32 v[6:7], v[6:7], v[158:159]
	v_fma_f64 v[16:17], v[8:9], v[156:157], v[6:7]
	v_lshlrev_b32_e32 v6, 4, v114
	s_clause 0x1
	global_load_b64 v[22:23], v6, s[10:11] offset:8
	global_load_b128 v[160:163], v6, s[10:11]
	scratch_store_b64 off, v[14:15], off offset:1604 ; 8-byte Folded Spill
	s_wait_loadcnt_dscnt 0x0
	v_mul_f64_e32 v[6:7], v[12:13], v[162:163]
	s_delay_alu instid0(VALU_DEP_1) | instskip(SKIP_1) | instid1(VALU_DEP_1)
	v_fma_f64 v[18:19], v[10:11], v[14:15], -v[6:7]
	v_mul_f64_e32 v[6:7], v[10:11], v[162:163]
	v_fma_f64 v[20:21], v[12:13], v[14:15], v[6:7]
	ds_load_b128 v[6:9], v96 offset:14112
	ds_load_b128 v[10:13], v96 offset:15120
	s_wait_dscnt 0x1
	v_mul_f64_e32 v[14:15], v[8:9], v[158:159]
	s_delay_alu instid0(VALU_DEP_1) | instskip(SKIP_1) | instid1(VALU_DEP_1)
	v_fma_f64 v[30:31], v[6:7], v[156:157], -v[14:15]
	v_mul_f64_e32 v[6:7], v[6:7], v[158:159]
	v_fma_f64 v[32:33], v[8:9], v[156:157], v[6:7]
	v_lshlrev_b32_e32 v6, 4, v115
	v_lshlrev_b32_e32 v7, 4, v116
	s_clause 0x1
	global_load_b128 v[172:175], v6, s[10:11]
	global_load_b128 v[164:167], v7, s[10:11]
	s_wait_loadcnt_dscnt 0x100
	v_mul_f64_e32 v[6:7], v[12:13], v[174:175]
	s_delay_alu instid0(VALU_DEP_1) | instskip(SKIP_1) | instid1(VALU_DEP_1)
	v_fma_f64 v[34:35], v[10:11], v[172:173], -v[6:7]
	v_mul_f64_e32 v[6:7], v[10:11], v[174:175]
	v_fma_f64 v[36:37], v[12:13], v[172:173], v[6:7]
	ds_load_b128 v[6:9], v96 offset:16128
	ds_load_b128 v[10:13], v96 offset:17136
	s_wait_dscnt 0x1
	v_mul_f64_e32 v[14:15], v[8:9], v[158:159]
	s_delay_alu instid0(VALU_DEP_1) | instskip(SKIP_1) | instid1(VALU_DEP_1)
	v_fma_f64 v[46:47], v[6:7], v[156:157], -v[14:15]
	v_mul_f64_e32 v[6:7], v[6:7], v[158:159]
	v_fma_f64 v[48:49], v[8:9], v[156:157], v[6:7]
	s_wait_loadcnt_dscnt 0x0
	v_mul_f64_e32 v[6:7], v[12:13], v[166:167]
	s_delay_alu instid0(VALU_DEP_1) | instskip(SKIP_1) | instid1(VALU_DEP_1)
	v_fma_f64 v[50:51], v[10:11], v[164:165], -v[6:7]
	v_mul_f64_e32 v[6:7], v[10:11], v[166:167]
	v_fma_f64 v[52:53], v[12:13], v[164:165], v[6:7]
	ds_load_b128 v[6:9], v96 offset:18144
	ds_load_b128 v[10:13], v96 offset:19152
	s_wait_dscnt 0x1
	v_mul_f64_e32 v[14:15], v[8:9], v[158:159]
	s_delay_alu instid0(VALU_DEP_1) | instskip(SKIP_1) | instid1(VALU_DEP_1)
	v_fma_f64 v[62:63], v[6:7], v[156:157], -v[14:15]
	v_mul_f64_e32 v[6:7], v[6:7], v[158:159]
	v_fma_f64 v[64:65], v[8:9], v[156:157], v[6:7]
	v_lshlrev_b32_e32 v6, 4, v117
	v_lshlrev_b32_e32 v7, 4, v118
	s_clause 0x1
	global_load_b128 v[176:179], v6, s[10:11]
	global_load_b128 v[168:171], v7, s[10:11]
	s_wait_loadcnt_dscnt 0x100
	v_mul_f64_e32 v[6:7], v[12:13], v[178:179]
	s_delay_alu instid0(VALU_DEP_1) | instskip(SKIP_1) | instid1(VALU_DEP_1)
	v_fma_f64 v[66:67], v[10:11], v[176:177], -v[6:7]
	v_mul_f64_e32 v[6:7], v[10:11], v[178:179]
	v_fma_f64 v[68:69], v[12:13], v[176:177], v[6:7]
	ds_load_b128 v[6:9], v96 offset:20160
	ds_load_b128 v[10:13], v96 offset:21168
	s_wait_dscnt 0x1
	v_mul_f64_e32 v[14:15], v[8:9], v[158:159]
	s_delay_alu instid0(VALU_DEP_1) | instskip(SKIP_1) | instid1(VALU_DEP_1)
	v_fma_f64 v[78:79], v[6:7], v[156:157], -v[14:15]
	v_mul_f64_e32 v[6:7], v[6:7], v[158:159]
	v_fma_f64 v[80:81], v[8:9], v[156:157], v[6:7]
	s_wait_loadcnt_dscnt 0x0
	v_mul_f64_e32 v[6:7], v[12:13], v[170:171]
	s_delay_alu instid0(VALU_DEP_1) | instskip(SKIP_1) | instid1(VALU_DEP_1)
	v_fma_f64 v[82:83], v[10:11], v[168:169], -v[6:7]
	v_mul_f64_e32 v[6:7], v[10:11], v[170:171]
	v_fma_f64 v[84:85], v[12:13], v[168:169], v[6:7]
	ds_load_b128 v[6:9], v96 offset:22176
	ds_load_b128 v[10:13], v96 offset:23184
	scratch_store_b64 off, v[22:23], off offset:1612 ; 8-byte Folded Spill
	s_wait_dscnt 0x1
	v_mul_f64_e32 v[14:15], v[8:9], v[158:159]
	s_delay_alu instid0(VALU_DEP_1) | instskip(SKIP_1) | instid1(VALU_DEP_1)
	v_fma_f64 v[94:95], v[6:7], v[156:157], -v[14:15]
	v_mul_f64_e32 v[6:7], v[6:7], v[158:159]
	v_fma_f64 v[102:103], v[8:9], v[156:157], v[6:7]
	s_wait_dscnt 0x0
	v_mul_f64_e32 v[6:7], v[12:13], v[22:23]
	s_delay_alu instid0(VALU_DEP_1) | instskip(SKIP_1) | instid1(VALU_DEP_1)
	v_fma_f64 v[104:105], v[10:11], v[160:161], -v[6:7]
	v_mul_f64_e32 v[6:7], v[10:11], v[22:23]
	v_fma_f64 v[106:107], v[12:13], v[160:161], v[6:7]
	ds_load_b128 v[6:9], v96
	ds_load_b128 v[10:13], v96 offset:1008
	ds_load_b128 v[22:25], v96 offset:2016
	ds_load_b128 v[26:29], v96 offset:3024
	ds_load_b128 v[38:41], v96 offset:4032
	ds_load_b128 v[42:45], v96 offset:5040
	ds_load_b128 v[54:57], v96 offset:6048
	ds_load_b128 v[58:61], v96 offset:7056
	ds_load_b128 v[70:73], v96 offset:8064
	ds_load_b128 v[74:77], v96 offset:9072
	ds_load_b128 v[86:89], v96 offset:10080
	ds_load_b128 v[90:93], v96 offset:11088
	global_wb scope:SCOPE_SE
	s_wait_storecnt_dscnt 0x0
	s_barrier_signal -1
	s_barrier_wait -1
	global_inv scope:SCOPE_SE
	v_add_f64_e64 v[14:15], v[6:7], -v[0:1]
	v_add_f64_e64 v[16:17], v[8:9], -v[16:17]
	;; [unrolled: 1-line block ×14, first 2 shown]
	v_and_or_b32 v0, 0x7c, v98, v113
	v_add_f64_e64 v[66:67], v[58:59], -v[66:67]
	v_add_f64_e64 v[68:69], v[60:61], -v[68:69]
	;; [unrolled: 1-line block ×4, first 2 shown]
	v_lshlrev_b32_e32 v0, 4, v0
	v_add_f64_e64 v[82:83], v[74:75], -v[82:83]
	v_add_f64_e64 v[84:85], v[76:77], -v[84:85]
	;; [unrolled: 1-line block ×4, first 2 shown]
	scratch_store_b32 off, v0, off offset:1600 ; 4-byte Folded Spill
	v_add_f64_e64 v[104:105], v[90:91], -v[104:105]
	v_add_f64_e64 v[106:107], v[92:93], -v[106:107]
	v_lshlrev_b32_e32 v1, 4, v123
	v_fma_f64 v[6:7], v[6:7], 2.0, -v[14:15]
	v_fma_f64 v[8:9], v[8:9], 2.0, -v[16:17]
	;; [unrolled: 1-line block ×8, first 2 shown]
	ds_store_b128 v0, v[14:17] offset:32
	v_fma_f64 v[38:39], v[38:39], 2.0, -v[46:47]
	v_fma_f64 v[40:41], v[40:41], 2.0, -v[48:49]
	;; [unrolled: 1-line block ×16, first 2 shown]
	ds_store_b128 v0, v[6:9]
	v_and_or_b32 v0, 0xfc, v119, v112
	v_lshlrev_b32_e32 v112, 1, v181
	s_delay_alu instid0(VALU_DEP_2) | instskip(SKIP_4) | instid1(VALU_DEP_1)
	v_lshlrev_b32_e32 v0, 4, v0
	ds_store_b128 v0, v[10:13]
	ds_store_b128 v0, v[18:21] offset:32
	scratch_store_b32 off, v0, off offset:1596 ; 4-byte Folded Spill
	v_and_or_b32 v0, 0x1fc, v112, v113
	v_lshlrev_b32_e32 v0, 4, v0
	ds_store_b128 v0, v[22:25]
	ds_store_b128 v0, v[30:33] offset:32
	scratch_store_b32 off, v0, off offset:1592 ; 4-byte Folded Spill
	v_and_or_b32 v0, 0x1fc, v120, v115
	v_lshlrev_b32_e32 v115, 1, v5
	s_delay_alu instid0(VALU_DEP_2) | instskip(SKIP_4) | instid1(VALU_DEP_1)
	v_lshlrev_b32_e32 v0, 4, v0
	ds_store_b128 v0, v[26:29]
	ds_store_b128 v0, v[34:37] offset:32
	scratch_store_b32 off, v0, off offset:1588 ; 4-byte Folded Spill
	v_and_or_b32 v0, 0x3fc, v115, v113
	v_lshlrev_b32_e32 v0, 4, v0
	ds_store_b128 v0, v[38:41]
	ds_store_b128 v0, v[46:49] offset:32
	scratch_store_b32 off, v0, off offset:1584 ; 4-byte Folded Spill
	;; [unrolled: 12-line block ×3, first 2 shown]
	v_and_or_b32 v0, 0x3fc, v122, v117
	v_lshlrev_b32_e32 v117, 1, v109
	v_and_b32_e32 v109, 3, v109
	s_delay_alu instid0(VALU_DEP_3) | instskip(SKIP_4) | instid1(VALU_DEP_1)
	v_lshlrev_b32_e32 v0, 4, v0
	ds_store_b128 v0, v[58:61]
	ds_store_b128 v0, v[66:69] offset:32
	scratch_store_b32 off, v0, off offset:1572 ; 4-byte Folded Spill
	v_and_or_b32 v0, 0x7fc, v108, v113
	v_lshlrev_b32_e32 v0, 4, v0
	ds_store_b128 v0, v[70:73]
	ds_store_b128 v0, v[78:81] offset:32
	scratch_store_b32 off, v0, off offset:1568 ; 4-byte Folded Spill
	v_and_or_b32 v0, 0x4fc, v117, v118
	v_lshlrev_b32_e32 v118, 1, v110
	v_and_b32_e32 v110, 3, v110
	s_delay_alu instid0(VALU_DEP_3) | instskip(NEXT) | instid1(VALU_DEP_2)
	v_lshlrev_b32_e32 v0, 4, v0
	v_lshlrev_b32_e32 v22, 4, v110
	ds_store_b128 v0, v[74:77]
	ds_store_b128 v0, v[82:85] offset:32
	scratch_store_b32 off, v0, off offset:1564 ; 4-byte Folded Spill
	v_and_or_b32 v0, 0x5fc, v118, v113
	v_lshlrev_b32_e32 v113, 1, v111
	v_and_b32_e32 v111, 3, v111
	s_delay_alu instid0(VALU_DEP_3)
	v_lshlrev_b32_e32 v0, 4, v0
	ds_store_b128 v0, v[86:89]
	ds_store_b128 v0, v[100:103] offset:32
	scratch_store_b32 off, v0, off offset:1560 ; 4-byte Folded Spill
	v_and_or_b32 v0, 0x5fc, v113, v114
	v_and_b32_e32 v114, 3, v180
	s_delay_alu instid0(VALU_DEP_2)
	v_lshlrev_b32_e32 v0, 4, v0
	ds_store_b128 v0, v[90:93]
	ds_store_b128 v0, v[104:107] offset:32
	scratch_store_b32 off, v0, off offset:1556 ; 4-byte Folded Spill
	v_lshlrev_b32_e32 v0, 4, v114
	global_wb scope:SCOPE_SE
	s_wait_storecnt_dscnt 0x0
	s_barrier_signal -1
	s_barrier_wait -1
	global_inv scope:SCOPE_SE
	s_clause 0x1
	global_load_b64 v[14:15], v0, s[10:11] offset:32
	global_load_b128 v[136:139], v1, s[10:11] offset:32
	ds_load_b128 v[6:9], v96 offset:12096
	ds_load_b128 v[10:13], v96 offset:13104
	s_wait_loadcnt_dscnt 0x1
	v_mul_f64_e32 v[0:1], v[8:9], v[138:139]
	s_delay_alu instid0(VALU_DEP_1) | instskip(SKIP_1) | instid1(VALU_DEP_1)
	v_fma_f64 v[0:1], v[6:7], v[136:137], -v[0:1]
	v_mul_f64_e32 v[6:7], v[6:7], v[138:139]
	v_fma_f64 v[16:17], v[8:9], v[136:137], v[6:7]
	v_lshlrev_b32_e32 v6, 4, v109
	s_clause 0x1
	global_load_b64 v[25:26], v6, s[10:11] offset:40
	global_load_b128 v[140:143], v6, s[10:11] offset:32
	scratch_store_b64 off, v[14:15], off offset:1524 ; 8-byte Folded Spill
	s_wait_loadcnt_dscnt 0x0
	v_mul_f64_e32 v[6:7], v[12:13], v[142:143]
	s_delay_alu instid0(VALU_DEP_1) | instskip(SKIP_1) | instid1(VALU_DEP_1)
	v_fma_f64 v[18:19], v[10:11], v[14:15], -v[6:7]
	v_mul_f64_e32 v[6:7], v[10:11], v[142:143]
	v_fma_f64 v[20:21], v[12:13], v[14:15], v[6:7]
	v_lshlrev_b32_e32 v6, 4, v124
	s_clause 0x1
	global_load_b64 v[23:24], v6, s[10:11] offset:32
	global_load_b128 v[128:131], v22, s[10:11] offset:32
	ds_load_b128 v[6:9], v96 offset:14112
	ds_load_b128 v[10:13], v96 offset:15120
	s_wait_loadcnt 0x1
	scratch_store_b64 off, v[23:24], off offset:1508 ; 8-byte Folded Spill
	s_wait_loadcnt_dscnt 0x1
	v_mul_f64_e32 v[14:15], v[8:9], v[130:131]
	s_delay_alu instid0(VALU_DEP_1) | instskip(SKIP_1) | instid1(VALU_DEP_1)
	v_fma_f64 v[30:31], v[6:7], v[23:24], -v[14:15]
	v_mul_f64_e32 v[6:7], v[6:7], v[130:131]
	v_fma_f64 v[32:33], v[8:9], v[23:24], v[6:7]
	v_lshlrev_b32_e32 v6, 4, v125
	v_lshlrev_b32_e32 v7, 4, v111
	s_clause 0x3
	global_load_b64 v[8:9], v6, s[10:11] offset:32
	global_load_b64 v[27:28], v22, s[10:11] offset:40
	global_load_b64 v[22:23], v7, s[10:11] offset:40
	global_load_b128 v[132:135], v7, s[10:11] offset:32
	s_wait_loadcnt 0x3
	scratch_store_b64 off, v[8:9], off offset:1516 ; 8-byte Folded Spill
	s_wait_loadcnt_dscnt 0x0
	v_mul_f64_e32 v[6:7], v[12:13], v[134:135]
	s_delay_alu instid0(VALU_DEP_1) | instskip(SKIP_1) | instid1(VALU_DEP_1)
	v_fma_f64 v[34:35], v[10:11], v[8:9], -v[6:7]
	v_mul_f64_e32 v[6:7], v[10:11], v[134:135]
	v_fma_f64 v[36:37], v[12:13], v[8:9], v[6:7]
	ds_load_b128 v[6:9], v96 offset:16128
	ds_load_b128 v[10:13], v96 offset:17136
	s_wait_dscnt 0x1
	v_mul_f64_e32 v[14:15], v[8:9], v[138:139]
	s_delay_alu instid0(VALU_DEP_1) | instskip(SKIP_1) | instid1(VALU_DEP_1)
	v_fma_f64 v[46:47], v[6:7], v[136:137], -v[14:15]
	v_mul_f64_e32 v[6:7], v[6:7], v[138:139]
	v_fma_f64 v[48:49], v[8:9], v[136:137], v[6:7]
	v_lshlrev_b32_e32 v6, 4, v126
	v_lshlrev_b32_e32 v7, 4, v127
	s_clause 0x1
	global_load_b128 v[148:151], v6, s[10:11] offset:32
	global_load_b128 v[144:147], v7, s[10:11] offset:32
	s_wait_loadcnt_dscnt 0x100
	v_mul_f64_e32 v[6:7], v[12:13], v[150:151]
	s_delay_alu instid0(VALU_DEP_1) | instskip(SKIP_1) | instid1(VALU_DEP_1)
	v_fma_f64 v[50:51], v[10:11], v[148:149], -v[6:7]
	v_mul_f64_e32 v[6:7], v[10:11], v[150:151]
	v_fma_f64 v[52:53], v[12:13], v[148:149], v[6:7]
	ds_load_b128 v[6:9], v96 offset:18144
	ds_load_b128 v[10:13], v96 offset:19152
	s_wait_loadcnt_dscnt 0x1
	v_mul_f64_e32 v[14:15], v[8:9], v[146:147]
	s_delay_alu instid0(VALU_DEP_1) | instskip(SKIP_1) | instid1(VALU_DEP_1)
	v_fma_f64 v[62:63], v[6:7], v[144:145], -v[14:15]
	v_mul_f64_e32 v[6:7], v[6:7], v[146:147]
	v_fma_f64 v[64:65], v[8:9], v[144:145], v[6:7]
	v_lshlrev_b32_e32 v6, 4, v183
	global_load_b128 v[152:155], v6, s[10:11] offset:32
	s_wait_loadcnt_dscnt 0x0
	v_mul_f64_e32 v[6:7], v[12:13], v[154:155]
	s_delay_alu instid0(VALU_DEP_1) | instskip(SKIP_1) | instid1(VALU_DEP_1)
	v_fma_f64 v[66:67], v[10:11], v[152:153], -v[6:7]
	v_mul_f64_e32 v[6:7], v[10:11], v[154:155]
	v_fma_f64 v[68:69], v[12:13], v[152:153], v[6:7]
	ds_load_b128 v[6:9], v96 offset:20160
	ds_load_b128 v[10:13], v96 offset:21168
	scratch_store_b64 off, v[25:26], off offset:1540 ; 8-byte Folded Spill
	s_wait_dscnt 0x1
	v_mul_f64_e32 v[14:15], v[8:9], v[138:139]
	s_delay_alu instid0(VALU_DEP_1) | instskip(SKIP_1) | instid1(VALU_DEP_1)
	v_fma_f64 v[78:79], v[6:7], v[136:137], -v[14:15]
	v_mul_f64_e32 v[6:7], v[6:7], v[138:139]
	v_fma_f64 v[80:81], v[8:9], v[136:137], v[6:7]
	s_wait_dscnt 0x0
	v_mul_f64_e32 v[6:7], v[12:13], v[25:26]
	s_delay_alu instid0(VALU_DEP_1) | instskip(SKIP_1) | instid1(VALU_DEP_1)
	v_fma_f64 v[82:83], v[10:11], v[140:141], -v[6:7]
	v_mul_f64_e32 v[6:7], v[10:11], v[25:26]
	v_fma_f64 v[84:85], v[12:13], v[140:141], v[6:7]
	ds_load_b128 v[6:9], v96 offset:22176
	ds_load_b128 v[10:13], v96 offset:23184
	s_clause 0x1
	scratch_store_b64 off, v[27:28], off offset:1548
	scratch_store_b64 off, v[22:23], off offset:1532
	s_wait_dscnt 0x1
	v_mul_f64_e32 v[14:15], v[8:9], v[27:28]
	s_delay_alu instid0(VALU_DEP_1) | instskip(SKIP_1) | instid1(VALU_DEP_1)
	v_fma_f64 v[94:95], v[6:7], v[128:129], -v[14:15]
	v_mul_f64_e32 v[6:7], v[6:7], v[27:28]
	v_fma_f64 v[102:103], v[8:9], v[128:129], v[6:7]
	s_wait_dscnt 0x0
	v_mul_f64_e32 v[6:7], v[12:13], v[22:23]
	s_delay_alu instid0(VALU_DEP_1) | instskip(SKIP_1) | instid1(VALU_DEP_1)
	v_fma_f64 v[104:105], v[10:11], v[132:133], -v[6:7]
	v_mul_f64_e32 v[6:7], v[10:11], v[22:23]
	v_fma_f64 v[106:107], v[12:13], v[132:133], v[6:7]
	ds_load_b128 v[6:9], v96
	ds_load_b128 v[10:13], v96 offset:1008
	ds_load_b128 v[22:25], v96 offset:2016
	;; [unrolled: 1-line block ×11, first 2 shown]
	global_wb scope:SCOPE_SE
	s_wait_storecnt_dscnt 0x0
	s_barrier_signal -1
	s_barrier_wait -1
	global_inv scope:SCOPE_SE
	v_add_f64_e64 v[14:15], v[6:7], -v[0:1]
	v_add_f64_e64 v[16:17], v[8:9], -v[16:17]
	;; [unrolled: 1-line block ×14, first 2 shown]
	v_and_or_b32 v0, 0x78, v98, v123
	v_add_f64_e64 v[66:67], v[58:59], -v[66:67]
	v_add_f64_e64 v[68:69], v[60:61], -v[68:69]
	;; [unrolled: 1-line block ×4, first 2 shown]
	v_lshlrev_b32_e32 v0, 4, v0
	v_add_f64_e64 v[82:83], v[74:75], -v[82:83]
	v_add_f64_e64 v[84:85], v[76:77], -v[84:85]
	;; [unrolled: 1-line block ×4, first 2 shown]
	scratch_store_b32 off, v0, off offset:1504 ; 4-byte Folded Spill
	v_add_f64_e64 v[104:105], v[90:91], -v[104:105]
	v_add_f64_e64 v[106:107], v[92:93], -v[106:107]
	v_fma_f64 v[6:7], v[6:7], 2.0, -v[14:15]
	v_fma_f64 v[8:9], v[8:9], 2.0, -v[16:17]
	;; [unrolled: 1-line block ×8, first 2 shown]
	ds_store_b128 v0, v[14:17] offset:64
	v_fma_f64 v[38:39], v[38:39], 2.0, -v[46:47]
	v_fma_f64 v[40:41], v[40:41], 2.0, -v[48:49]
	;; [unrolled: 1-line block ×16, first 2 shown]
	ds_store_b128 v0, v[6:9]
	v_and_or_b32 v0, 0xf8, v119, v114
	s_delay_alu instid0(VALU_DEP_1) | instskip(SKIP_4) | instid1(VALU_DEP_1)
	v_lshlrev_b32_e32 v0, 4, v0
	ds_store_b128 v0, v[10:13]
	ds_store_b128 v0, v[18:21] offset:64
	scratch_store_b32 off, v0, off offset:1500 ; 4-byte Folded Spill
	v_and_or_b32 v0, 0x1f8, v112, v124
	v_lshlrev_b32_e32 v0, 4, v0
	ds_store_b128 v0, v[22:25]
	ds_store_b128 v0, v[30:33] offset:64
	scratch_store_b32 off, v0, off offset:1496 ; 4-byte Folded Spill
	v_and_or_b32 v0, 0x1f8, v120, v125
	s_delay_alu instid0(VALU_DEP_1) | instskip(SKIP_4) | instid1(VALU_DEP_1)
	v_lshlrev_b32_e32 v0, 4, v0
	ds_store_b128 v0, v[26:29]
	ds_store_b128 v0, v[34:37] offset:64
	scratch_store_b32 off, v0, off offset:1492 ; 4-byte Folded Spill
	v_and_or_b32 v0, 0x3f8, v115, v123
	v_lshlrev_b32_e32 v0, 4, v0
	ds_store_b128 v0, v[38:41]
	ds_store_b128 v0, v[46:49] offset:64
	scratch_store_b32 off, v0, off offset:1488 ; 4-byte Folded Spill
	;; [unrolled: 11-line block ×3, first 2 shown]
	v_and_or_b32 v0, 0x3f8, v122, v183
	v_and_b32_e32 v64, 7, v97
	v_and_b32_e32 v65, 7, v180
	s_delay_alu instid0(VALU_DEP_3)
	v_lshlrev_b32_e32 v0, 4, v0
	ds_store_b128 v0, v[58:61]
	ds_store_b128 v0, v[66:69] offset:64
	scratch_store_b32 off, v0, off offset:1476 ; 4-byte Folded Spill
	v_and_or_b32 v0, 0x7f8, v108, v123
	v_and_b32_e32 v66, 7, v181
	v_and_b32_e32 v67, 7, v99
	;; [unrolled: 1-line block ×4, first 2 shown]
	v_lshlrev_b32_e32 v0, 4, v0
	ds_store_b128 v0, v[70:73]
	ds_store_b128 v0, v[78:81] offset:64
	scratch_store_b32 off, v0, off offset:1472 ; 4-byte Folded Spill
	v_and_or_b32 v0, 0x4f8, v117, v109
	v_and_b32_e32 v70, 7, v3
	v_and_b32_e32 v71, 7, v2
	s_delay_alu instid0(VALU_DEP_3)
	v_lshlrev_b32_e32 v0, 4, v0
	ds_store_b128 v0, v[74:77]
	ds_store_b128 v0, v[82:85] offset:64
	scratch_store_b32 off, v0, off offset:1468 ; 4-byte Folded Spill
	v_and_or_b32 v0, 0x5f8, v118, v110
	v_and_b32_e32 v74, 0xffff, v5
	v_and_b32_e32 v85, 0xffff, v4
	s_delay_alu instid0(VALU_DEP_3)
	v_lshlrev_b32_e32 v0, 4, v0
	ds_store_b128 v0, v[86:89]
	ds_store_b128 v0, v[100:103] offset:64
	scratch_store_b32 off, v0, off offset:1464 ; 4-byte Folded Spill
	v_and_or_b32 v0, 0x5f8, v113, v111
	v_and_b32_e32 v88, 0xffff, v3
	s_delay_alu instid0(VALU_DEP_2)
	v_lshlrev_b32_e32 v0, 4, v0
	ds_store_b128 v0, v[90:93]
	ds_store_b128 v0, v[104:107] offset:64
	scratch_store_b32 off, v0, off offset:1460 ; 4-byte Folded Spill
	v_lshlrev_b32_e32 v0, 5, v64
	global_wb scope:SCOPE_SE
	s_wait_storecnt_dscnt 0x0
	s_barrier_signal -1
	s_barrier_wait -1
	global_inv scope:SCOPE_SE
	s_clause 0x1
	global_load_b128 v[124:127], v0, s[10:11] offset:96
	global_load_b128 v[112:115], v0, s[10:11] offset:112
	ds_load_b128 v[6:9], v96 offset:8064
	ds_load_b128 v[10:13], v96 offset:9072
	s_wait_loadcnt_dscnt 0x101
	v_mul_f64_e32 v[0:1], v[8:9], v[126:127]
	s_delay_alu instid0(VALU_DEP_1) | instskip(SKIP_1) | instid1(VALU_DEP_1)
	v_fma_f64 v[0:1], v[6:7], v[124:125], -v[0:1]
	v_mul_f64_e32 v[6:7], v[6:7], v[126:127]
	v_fma_f64 v[18:19], v[8:9], v[124:125], v[6:7]
	ds_load_b128 v[6:9], v96 offset:16128
	ds_load_b128 v[14:17], v96 offset:17136
	s_wait_loadcnt_dscnt 0x1
	v_mul_f64_e32 v[20:21], v[8:9], v[114:115]
	s_delay_alu instid0(VALU_DEP_1) | instskip(SKIP_1) | instid1(VALU_DEP_1)
	v_fma_f64 v[20:21], v[6:7], v[112:113], -v[20:21]
	v_mul_f64_e32 v[6:7], v[6:7], v[114:115]
	v_fma_f64 v[22:23], v[8:9], v[112:113], v[6:7]
	v_lshlrev_b32_e32 v6, 5, v65
	s_clause 0x1
	global_load_b128 v[120:123], v6, s[10:11] offset:96
	global_load_b128 v[116:119], v6, s[10:11] offset:112
	s_wait_loadcnt 0x1
	v_mul_f64_e32 v[6:7], v[12:13], v[122:123]
	s_delay_alu instid0(VALU_DEP_1) | instskip(SKIP_1) | instid1(VALU_DEP_1)
	v_fma_f64 v[24:25], v[10:11], v[120:121], -v[6:7]
	v_mul_f64_e32 v[6:7], v[10:11], v[122:123]
	v_fma_f64 v[26:27], v[12:13], v[120:121], v[6:7]
	s_wait_loadcnt_dscnt 0x0
	v_mul_f64_e32 v[6:7], v[16:17], v[118:119]
	s_delay_alu instid0(VALU_DEP_1) | instskip(SKIP_1) | instid1(VALU_DEP_1)
	v_fma_f64 v[28:29], v[14:15], v[116:117], -v[6:7]
	v_mul_f64_e32 v[6:7], v[14:15], v[118:119]
	v_fma_f64 v[30:31], v[16:17], v[116:117], v[6:7]
	v_lshlrev_b32_e32 v6, 5, v66
	s_clause 0x1
	global_load_b128 v[76:79], v6, s[10:11] offset:96
	global_load_b128 v[34:37], v6, s[10:11] offset:112
	ds_load_b128 v[6:9], v96 offset:10080
	ds_load_b128 v[10:13], v96 offset:11088
	s_wait_loadcnt_dscnt 0x101
	v_mul_f64_e32 v[14:15], v[8:9], v[78:79]
	s_delay_alu instid0(VALU_DEP_1) | instskip(SKIP_1) | instid1(VALU_DEP_1)
	v_fma_f64 v[38:39], v[6:7], v[76:77], -v[14:15]
	v_mul_f64_e32 v[6:7], v[6:7], v[78:79]
	v_fma_f64 v[40:41], v[8:9], v[76:77], v[6:7]
	ds_load_b128 v[6:9], v96 offset:18144
	ds_load_b128 v[14:17], v96 offset:19152
	s_wait_loadcnt 0x0
	scratch_store_b128 off, v[34:37], off offset:1412 ; 16-byte Folded Spill
	s_wait_dscnt 0x1
	v_mul_f64_e32 v[32:33], v[8:9], v[36:37]
	s_delay_alu instid0(VALU_DEP_1) | instskip(SKIP_1) | instid1(VALU_DEP_1)
	v_fma_f64 v[42:43], v[6:7], v[34:35], -v[32:33]
	v_mul_f64_e32 v[6:7], v[6:7], v[36:37]
	v_fma_f64 v[44:45], v[8:9], v[34:35], v[6:7]
	v_lshlrev_b32_e32 v6, 5, v67
	s_clause 0x1
	global_load_b128 v[48:51], v6, s[10:11] offset:96
	global_load_b128 v[32:35], v6, s[10:11] offset:112
	s_wait_loadcnt 0x1
	v_mul_f64_e32 v[6:7], v[12:13], v[50:51]
	scratch_store_b128 off, v[48:51], off offset:1444 ; 16-byte Folded Spill
	s_wait_loadcnt 0x0
	scratch_store_b128 off, v[32:35], off offset:1428 ; 16-byte Folded Spill
	v_fma_f64 v[46:47], v[10:11], v[48:49], -v[6:7]
	v_mul_f64_e32 v[6:7], v[10:11], v[50:51]
	s_delay_alu instid0(VALU_DEP_1) | instskip(SKIP_2) | instid1(VALU_DEP_1)
	v_fma_f64 v[48:49], v[12:13], v[48:49], v[6:7]
	s_wait_dscnt 0x0
	v_mul_f64_e32 v[6:7], v[16:17], v[34:35]
	v_fma_f64 v[50:51], v[14:15], v[32:33], -v[6:7]
	v_mul_f64_e32 v[6:7], v[14:15], v[34:35]
	s_delay_alu instid0(VALU_DEP_1)
	v_fma_f64 v[52:53], v[16:17], v[32:33], v[6:7]
	v_lshlrev_b32_e32 v6, 5, v68
	s_clause 0x1
	global_load_b128 v[54:57], v6, s[10:11] offset:96
	global_load_b128 v[34:37], v6, s[10:11] offset:112
	ds_load_b128 v[6:9], v96 offset:12096
	ds_load_b128 v[10:13], v96 offset:13104
	s_wait_loadcnt_dscnt 0x101
	v_mul_f64_e32 v[14:15], v[8:9], v[56:57]
	scratch_store_b128 off, v[54:57], off offset:1396 ; 16-byte Folded Spill
	v_fma_f64 v[62:63], v[6:7], v[54:55], -v[14:15]
	v_mul_f64_e32 v[6:7], v[6:7], v[56:57]
	s_delay_alu instid0(VALU_DEP_1)
	v_fma_f64 v[80:81], v[8:9], v[54:55], v[6:7]
	ds_load_b128 v[6:9], v96 offset:20160
	ds_load_b128 v[14:17], v96 offset:21168
	s_wait_loadcnt 0x0
	scratch_store_b128 off, v[34:37], off offset:1348 ; 16-byte Folded Spill
	s_wait_dscnt 0x1
	v_mul_f64_e32 v[32:33], v[8:9], v[36:37]
	s_delay_alu instid0(VALU_DEP_1) | instskip(SKIP_1) | instid1(VALU_DEP_1)
	v_fma_f64 v[82:83], v[6:7], v[34:35], -v[32:33]
	v_mul_f64_e32 v[6:7], v[6:7], v[36:37]
	v_fma_f64 v[185:186], v[8:9], v[34:35], v[6:7]
	v_lshlrev_b32_e32 v6, 5, v69
	s_clause 0x1
	global_load_b128 v[54:57], v6, s[10:11] offset:96
	global_load_b128 v[32:35], v6, s[10:11] offset:112
	v_add_f64_e32 v[187:188], v[80:81], v[185:186]
	v_add_f64_e64 v[197:198], v[80:81], -v[185:186]
	s_wait_loadcnt 0x1
	v_mul_f64_e32 v[6:7], v[12:13], v[56:57]
	scratch_store_b128 off, v[54:57], off offset:1380 ; 16-byte Folded Spill
	s_wait_loadcnt 0x0
	scratch_store_b128 off, v[32:35], off offset:1364 ; 16-byte Folded Spill
	v_fma_f64 v[189:190], v[10:11], v[54:55], -v[6:7]
	v_mul_f64_e32 v[6:7], v[10:11], v[56:57]
	s_delay_alu instid0(VALU_DEP_1) | instskip(SKIP_2) | instid1(VALU_DEP_1)
	v_fma_f64 v[191:192], v[12:13], v[54:55], v[6:7]
	s_wait_dscnt 0x0
	v_mul_f64_e32 v[6:7], v[16:17], v[34:35]
	v_fma_f64 v[193:194], v[14:15], v[32:33], -v[6:7]
	v_mul_f64_e32 v[6:7], v[14:15], v[34:35]
	s_delay_alu instid0(VALU_DEP_1)
	v_fma_f64 v[195:196], v[16:17], v[32:33], v[6:7]
	v_lshlrev_b32_e32 v6, 5, v70
	s_clause 0x1
	global_load_b128 v[54:57], v6, s[10:11] offset:96
	global_load_b128 v[34:37], v6, s[10:11] offset:112
	ds_load_b128 v[6:9], v96 offset:14112
	ds_load_b128 v[10:13], v96 offset:15120
	s_wait_loadcnt_dscnt 0x101
	v_mul_f64_e32 v[14:15], v[8:9], v[56:57]
	scratch_store_b128 off, v[54:57], off offset:1332 ; 16-byte Folded Spill
	v_fma_f64 v[205:206], v[6:7], v[54:55], -v[14:15]
	v_mul_f64_e32 v[6:7], v[6:7], v[56:57]
	s_delay_alu instid0(VALU_DEP_1)
	v_fma_f64 v[207:208], v[8:9], v[54:55], v[6:7]
	ds_load_b128 v[6:9], v96 offset:22176
	ds_load_b128 v[14:17], v96 offset:23184
	s_wait_loadcnt 0x0
	scratch_store_b128 off, v[34:37], off offset:1284 ; 16-byte Folded Spill
	s_wait_dscnt 0x1
	v_mul_f64_e32 v[32:33], v[8:9], v[36:37]
	s_delay_alu instid0(VALU_DEP_1) | instskip(SKIP_1) | instid1(VALU_DEP_1)
	v_fma_f64 v[209:210], v[6:7], v[34:35], -v[32:33]
	v_mul_f64_e32 v[6:7], v[6:7], v[36:37]
	v_fma_f64 v[211:212], v[8:9], v[34:35], v[6:7]
	v_lshlrev_b32_e32 v6, 5, v71
	s_clause 0x1
	global_load_b128 v[54:57], v6, s[10:11] offset:96
	global_load_b128 v[32:35], v6, s[10:11] offset:112
	s_wait_loadcnt 0x1
	v_mul_f64_e32 v[6:7], v[12:13], v[56:57]
	scratch_store_b128 off, v[54:57], off offset:1316 ; 16-byte Folded Spill
	s_wait_loadcnt 0x0
	scratch_store_b128 off, v[32:35], off offset:1300 ; 16-byte Folded Spill
	v_fma_f64 v[213:214], v[10:11], v[54:55], -v[6:7]
	v_mul_f64_e32 v[6:7], v[10:11], v[56:57]
	s_delay_alu instid0(VALU_DEP_1) | instskip(SKIP_3) | instid1(VALU_DEP_2)
	v_fma_f64 v[215:216], v[12:13], v[54:55], v[6:7]
	s_wait_dscnt 0x0
	v_mul_f64_e32 v[6:7], v[16:17], v[34:35]
	v_add_f64_e32 v[54:55], v[40:41], v[44:45]
	v_fma_f64 v[217:218], v[14:15], v[32:33], -v[6:7]
	v_mul_f64_e32 v[6:7], v[14:15], v[34:35]
	v_add_f64_e32 v[14:15], v[0:1], v[20:21]
	s_delay_alu instid0(VALU_DEP_2)
	v_fma_f64 v[219:220], v[16:17], v[32:33], v[6:7]
	ds_load_b128 v[6:9], v96
	ds_load_b128 v[10:13], v96 offset:1008
	s_wait_dscnt 0x1
	v_fma_f64 v[16:17], v[14:15], -0.5, v[6:7]
	v_add_f64_e32 v[14:15], v[18:19], v[22:23]
	v_add_f64_e32 v[6:7], v[6:7], v[0:1]
	v_add_f64_e64 v[0:1], v[0:1], -v[20:21]
	s_delay_alu instid0(VALU_DEP_3) | instskip(SKIP_3) | instid1(VALU_DEP_4)
	v_fma_f64 v[32:33], v[14:15], -0.5, v[8:9]
	v_add_f64_e32 v[8:9], v[8:9], v[18:19]
	v_add_f64_e64 v[18:19], v[18:19], -v[22:23]
	v_add_f64_e32 v[6:7], v[6:7], v[20:21]
	v_fma_f64 v[20:21], v[0:1], s[2:3], v[32:33]
	s_delay_alu instid0(VALU_DEP_4) | instskip(NEXT) | instid1(VALU_DEP_4)
	v_add_f64_e32 v[8:9], v[8:9], v[22:23]
	v_fma_f64 v[14:15], v[18:19], s[2:3], v[16:17]
	v_fma_f64 v[18:19], v[18:19], s[12:13], v[16:17]
	;; [unrolled: 1-line block ×3, first 2 shown]
	v_add_f64_e32 v[0:1], v[24:25], v[28:29]
	v_add_f64_e32 v[22:23], v[26:27], v[30:31]
	s_wait_dscnt 0x0
	s_delay_alu instid0(VALU_DEP_2) | instskip(SKIP_1) | instid1(VALU_DEP_3)
	v_fma_f64 v[0:1], v[0:1], -0.5, v[10:11]
	v_add_f64_e32 v[10:11], v[10:11], v[24:25]
	v_fma_f64 v[32:33], v[22:23], -0.5, v[12:13]
	v_add_f64_e32 v[12:13], v[12:13], v[26:27]
	v_add_f64_e64 v[26:27], v[26:27], -v[30:31]
	s_delay_alu instid0(VALU_DEP_4) | instskip(SKIP_1) | instid1(VALU_DEP_4)
	v_add_f64_e32 v[10:11], v[10:11], v[28:29]
	v_add_f64_e64 v[28:29], v[24:25], -v[28:29]
	v_add_f64_e32 v[12:13], v[12:13], v[30:31]
	s_delay_alu instid0(VALU_DEP_4)
	v_fma_f64 v[22:23], v[26:27], s[2:3], v[0:1]
	v_fma_f64 v[26:27], v[26:27], s[12:13], v[0:1]
	v_add_f64_e32 v[0:1], v[38:39], v[42:43]
	v_fma_f64 v[24:25], v[28:29], s[12:13], v[32:33]
	v_fma_f64 v[28:29], v[28:29], s[2:3], v[32:33]
	ds_load_b128 v[30:33], v96 offset:2016
	ds_load_b128 v[34:37], v96 offset:3024
	s_wait_dscnt 0x1
	v_fma_f64 v[54:55], v[54:55], -0.5, v[32:33]
	v_add_f64_e32 v[32:33], v[32:33], v[40:41]
	v_fma_f64 v[0:1], v[0:1], -0.5, v[30:31]
	v_add_f64_e32 v[30:31], v[30:31], v[38:39]
	v_add_f64_e64 v[40:41], v[40:41], -v[44:45]
	s_delay_alu instid0(VALU_DEP_4) | instskip(SKIP_1) | instid1(VALU_DEP_4)
	v_add_f64_e32 v[32:33], v[32:33], v[44:45]
	v_add_f64_e64 v[44:45], v[38:39], -v[42:43]
	v_add_f64_e32 v[30:31], v[30:31], v[42:43]
	s_delay_alu instid0(VALU_DEP_4)
	v_fma_f64 v[38:39], v[40:41], s[2:3], v[0:1]
	v_fma_f64 v[42:43], v[40:41], s[12:13], v[0:1]
	v_add_f64_e32 v[0:1], v[46:47], v[50:51]
	v_fma_f64 v[40:41], v[44:45], s[12:13], v[54:55]
	v_fma_f64 v[44:45], v[44:45], s[2:3], v[54:55]
	v_add_f64_e32 v[54:55], v[48:49], v[52:53]
	s_wait_dscnt 0x0
	s_delay_alu instid0(VALU_DEP_4) | instskip(SKIP_1) | instid1(VALU_DEP_3)
	v_fma_f64 v[0:1], v[0:1], -0.5, v[34:35]
	v_add_f64_e32 v[34:35], v[34:35], v[46:47]
	v_fma_f64 v[54:55], v[54:55], -0.5, v[36:37]
	v_add_f64_e32 v[36:37], v[36:37], v[48:49]
	v_add_f64_e64 v[48:49], v[48:49], -v[52:53]
	s_delay_alu instid0(VALU_DEP_4) | instskip(NEXT) | instid1(VALU_DEP_3)
	v_add_f64_e32 v[34:35], v[34:35], v[50:51]
	v_add_f64_e32 v[36:37], v[36:37], v[52:53]
	v_add_f64_e64 v[52:53], v[46:47], -v[50:51]
	s_delay_alu instid0(VALU_DEP_4) | instskip(SKIP_2) | instid1(VALU_DEP_4)
	v_fma_f64 v[46:47], v[48:49], s[2:3], v[0:1]
	v_fma_f64 v[50:51], v[48:49], s[12:13], v[0:1]
	v_add_f64_e32 v[0:1], v[62:63], v[82:83]
	v_fma_f64 v[48:49], v[52:53], s[12:13], v[54:55]
	v_fma_f64 v[52:53], v[52:53], s[2:3], v[54:55]
	ds_load_b128 v[54:57], v96 offset:4032
	ds_load_b128 v[58:61], v96 offset:5040
	s_wait_dscnt 0x1
	v_fma_f64 v[0:1], v[0:1], -0.5, v[54:55]
	v_fma_f64 v[187:188], v[187:188], -0.5, v[56:57]
	v_add_f64_e32 v[54:55], v[54:55], v[62:63]
	v_add_f64_e64 v[62:63], v[62:63], -v[82:83]
	v_add_f64_e32 v[56:57], v[56:57], v[80:81]
	v_fma_f64 v[80:81], v[197:198], s[2:3], v[0:1]
	s_delay_alu instid0(VALU_DEP_4) | instskip(NEXT) | instid1(VALU_DEP_4)
	v_add_f64_e32 v[54:55], v[54:55], v[82:83]
	v_fma_f64 v[82:83], v[62:63], s[12:13], v[187:188]
	v_fma_f64 v[187:188], v[62:63], s[2:3], v[187:188]
	v_add_f64_e32 v[62:63], v[191:192], v[195:196]
	v_add_f64_e32 v[56:57], v[56:57], v[185:186]
	v_fma_f64 v[185:186], v[197:198], s[12:13], v[0:1]
	v_add_f64_e32 v[0:1], v[189:190], v[193:194]
	ds_load_b128 v[197:200], v96 offset:6048
	ds_load_b128 v[201:204], v96 offset:7056
	global_wb scope:SCOPE_SE
	s_wait_storecnt_dscnt 0x0
	s_barrier_signal -1
	s_barrier_wait -1
	global_inv scope:SCOPE_SE
	v_fma_f64 v[62:63], v[62:63], -0.5, v[60:61]
	v_add_f64_e32 v[60:61], v[60:61], v[191:192]
	v_add_f64_e64 v[191:192], v[191:192], -v[195:196]
	v_fma_f64 v[0:1], v[0:1], -0.5, v[58:59]
	v_add_f64_e32 v[58:59], v[58:59], v[189:190]
	s_delay_alu instid0(VALU_DEP_4) | instskip(SKIP_1) | instid1(VALU_DEP_4)
	v_add_f64_e32 v[60:61], v[60:61], v[195:196]
	v_add_f64_e64 v[195:196], v[189:190], -v[193:194]
	v_fma_f64 v[189:190], v[191:192], s[2:3], v[0:1]
	s_delay_alu instid0(VALU_DEP_4)
	v_add_f64_e32 v[58:59], v[58:59], v[193:194]
	v_fma_f64 v[193:194], v[191:192], s[12:13], v[0:1]
	v_add_f64_e32 v[0:1], v[205:206], v[209:210]
	v_fma_f64 v[191:192], v[195:196], s[12:13], v[62:63]
	v_fma_f64 v[195:196], v[195:196], s[2:3], v[62:63]
	v_add_f64_e32 v[62:63], v[207:208], v[211:212]
	s_delay_alu instid0(VALU_DEP_4) | instskip(SKIP_1) | instid1(VALU_DEP_3)
	v_fma_f64 v[0:1], v[0:1], -0.5, v[197:198]
	v_add_f64_e32 v[197:198], v[197:198], v[205:206]
	v_fma_f64 v[62:63], v[62:63], -0.5, v[199:200]
	v_add_f64_e32 v[199:200], v[199:200], v[207:208]
	v_add_f64_e64 v[207:208], v[207:208], -v[211:212]
	s_delay_alu instid0(VALU_DEP_4) | instskip(NEXT) | instid1(VALU_DEP_3)
	v_add_f64_e32 v[197:198], v[197:198], v[209:210]
	v_add_f64_e32 v[199:200], v[199:200], v[211:212]
	v_add_f64_e64 v[211:212], v[205:206], -v[209:210]
	s_delay_alu instid0(VALU_DEP_4) | instskip(SKIP_2) | instid1(VALU_DEP_4)
	v_fma_f64 v[205:206], v[207:208], s[2:3], v[0:1]
	v_fma_f64 v[209:210], v[207:208], s[12:13], v[0:1]
	v_add_f64_e32 v[0:1], v[213:214], v[217:218]
	v_fma_f64 v[207:208], v[211:212], s[12:13], v[62:63]
	v_fma_f64 v[211:212], v[211:212], s[2:3], v[62:63]
	v_add_f64_e32 v[62:63], v[215:216], v[219:220]
	s_delay_alu instid0(VALU_DEP_4) | instskip(SKIP_1) | instid1(VALU_DEP_3)
	v_fma_f64 v[0:1], v[0:1], -0.5, v[201:202]
	v_add_f64_e32 v[201:202], v[201:202], v[213:214]
	v_fma_f64 v[62:63], v[62:63], -0.5, v[203:204]
	v_add_f64_e32 v[203:204], v[203:204], v[215:216]
	v_add_f64_e64 v[215:216], v[215:216], -v[219:220]
	s_delay_alu instid0(VALU_DEP_4) | instskip(NEXT) | instid1(VALU_DEP_3)
	v_add_f64_e32 v[201:202], v[201:202], v[217:218]
	v_add_f64_e32 v[203:204], v[203:204], v[219:220]
	v_add_f64_e64 v[219:220], v[213:214], -v[217:218]
	s_delay_alu instid0(VALU_DEP_4) | instskip(SKIP_2) | instid1(VALU_DEP_1)
	v_fma_f64 v[213:214], v[215:216], s[2:3], v[0:1]
	v_fma_f64 v[217:218], v[215:216], s[12:13], v[0:1]
	v_lshrrev_b32_e32 v0, 3, v97
	v_mul_u32_u24_e32 v0, 24, v0
	s_delay_alu instid0(VALU_DEP_1) | instskip(NEXT) | instid1(VALU_DEP_1)
	v_or_b32_e32 v0, v0, v64
	v_lshlrev_b32_e32 v0, 4, v0
	ds_store_b128 v0, v[6:9]
	ds_store_b128 v0, v[14:17] offset:128
	scratch_store_b32 off, v0, off offset:1280 ; 4-byte Folded Spill
	ds_store_b128 v0, v[18:21] offset:256
	v_lshrrev_b32_e32 v0, 3, v180
	s_delay_alu instid0(VALU_DEP_1) | instskip(NEXT) | instid1(VALU_DEP_1)
	v_mul_u32_u24_e32 v0, 24, v0
	v_or_b32_e32 v0, v0, v65
	v_fma_f64 v[215:216], v[219:220], s[12:13], v[62:63]
	v_fma_f64 v[219:220], v[219:220], s[2:3], v[62:63]
	s_delay_alu instid0(VALU_DEP_3)
	v_lshlrev_b32_e32 v0, 4, v0
	ds_store_b128 v0, v[10:13]
	ds_store_b128 v0, v[22:25] offset:128
	scratch_store_b32 off, v0, off offset:1276 ; 4-byte Folded Spill
	ds_store_b128 v0, v[26:29] offset:256
	v_lshrrev_b32_e32 v0, 3, v181
	s_delay_alu instid0(VALU_DEP_1) | instskip(NEXT) | instid1(VALU_DEP_1)
	v_mul_u32_u24_e32 v0, 24, v0
	v_or_b32_e32 v0, v0, v66
	s_delay_alu instid0(VALU_DEP_1)
	v_lshlrev_b32_e32 v0, 4, v0
	ds_store_b128 v0, v[30:33]
	ds_store_b128 v0, v[38:41] offset:128
	scratch_store_b32 off, v0, off offset:1272 ; 4-byte Folded Spill
	ds_store_b128 v0, v[42:45] offset:256
	v_lshrrev_b32_e32 v0, 3, v99
	s_delay_alu instid0(VALU_DEP_1) | instskip(NEXT) | instid1(VALU_DEP_1)
	v_mul_u32_u24_e32 v0, 24, v0
	v_or_b32_e32 v0, v0, v67
	s_delay_alu instid0(VALU_DEP_1)
	v_lshlrev_b32_e32 v0, 4, v0
	ds_store_b128 v0, v[34:37]
	ds_store_b128 v0, v[46:49] offset:128
	scratch_store_b32 off, v0, off offset:1268 ; 4-byte Folded Spill
	ds_store_b128 v0, v[50:53] offset:256
	v_lshrrev_b32_e32 v0, 3, v5
	s_delay_alu instid0(VALU_DEP_1) | instskip(NEXT) | instid1(VALU_DEP_1)
	v_mul_u32_u24_e32 v0, 24, v0
	v_or_b32_e32 v0, v0, v68
	v_and_b32_e32 v68, 0xff, v181
	s_delay_alu instid0(VALU_DEP_2)
	v_lshlrev_b32_e32 v0, 4, v0
	ds_store_b128 v0, v[54:57]
	ds_store_b128 v0, v[80:83] offset:128
	scratch_store_b32 off, v0, off offset:1264 ; 4-byte Folded Spill
	ds_store_b128 v0, v[185:188] offset:256
	v_lshrrev_b32_e32 v0, 3, v4
	s_delay_alu instid0(VALU_DEP_1) | instskip(NEXT) | instid1(VALU_DEP_1)
	v_mul_u32_u24_e32 v0, 24, v0
	v_or_b32_e32 v0, v0, v69
	s_delay_alu instid0(VALU_DEP_1)
	v_lshlrev_b32_e32 v0, 4, v0
	ds_store_b128 v0, v[58:61]
	ds_store_b128 v0, v[189:192] offset:128
	scratch_store_b32 off, v0, off offset:1260 ; 4-byte Folded Spill
	ds_store_b128 v0, v[193:196] offset:256
	v_lshrrev_b32_e32 v0, 3, v3
	s_delay_alu instid0(VALU_DEP_1) | instskip(NEXT) | instid1(VALU_DEP_1)
	v_mul_u32_u24_e32 v0, 24, v0
	v_or_b32_e32 v0, v0, v70
	s_delay_alu instid0(VALU_DEP_1)
	v_lshlrev_b32_e32 v0, 4, v0
	ds_store_b128 v0, v[197:200]
	ds_store_b128 v0, v[205:208] offset:128
	scratch_store_b32 off, v0, off offset:1256 ; 4-byte Folded Spill
	ds_store_b128 v0, v[209:212] offset:256
	v_lshrrev_b32_e32 v0, 3, v2
	s_delay_alu instid0(VALU_DEP_1) | instskip(NEXT) | instid1(VALU_DEP_1)
	v_mul_u32_u24_e32 v0, 24, v0
	v_or_b32_e32 v0, v0, v71
	v_and_b32_e32 v71, 0xff, v99
	s_delay_alu instid0(VALU_DEP_2)
	v_lshlrev_b32_e32 v0, 4, v0
	ds_store_b128 v0, v[201:204]
	ds_store_b128 v0, v[213:216] offset:128
	scratch_store_b32 off, v0, off offset:1252 ; 4-byte Folded Spill
	ds_store_b128 v0, v[217:220] offset:256
	v_and_b32_e32 v0, 0xff, v184
	global_wb scope:SCOPE_SE
	s_wait_storecnt_dscnt 0x0
	s_barrier_signal -1
	s_barrier_wait -1
	global_inv scope:SCOPE_SE
	v_mul_lo_u16 v0, 0xab, v0
	s_delay_alu instid0(VALU_DEP_1) | instskip(NEXT) | instid1(VALU_DEP_1)
	v_lshrrev_b16 v64, 12, v0
	v_mul_lo_u16 v0, v64, 24
	s_delay_alu instid0(VALU_DEP_1) | instskip(NEXT) | instid1(VALU_DEP_1)
	v_sub_nc_u16 v0, v184, v0
	v_and_b32_e32 v65, 0xff, v0
	s_delay_alu instid0(VALU_DEP_1)
	v_lshlrev_b32_e32 v0, 5, v65
	s_clause 0x1
	global_load_b128 v[14:17], v0, s[10:11] offset:352
	global_load_b128 v[24:27], v0, s[10:11] offset:368
	ds_load_b128 v[6:9], v96 offset:8064
	ds_load_b128 v[10:13], v96 offset:9072
	s_wait_loadcnt_dscnt 0x101
	v_mul_f64_e32 v[0:1], v[8:9], v[16:17]
	scratch_store_b128 off, v[14:17], off offset:1156 ; 16-byte Folded Spill
	v_fma_f64 v[0:1], v[6:7], v[14:15], -v[0:1]
	v_mul_f64_e32 v[6:7], v[6:7], v[16:17]
	s_delay_alu instid0(VALU_DEP_1)
	v_fma_f64 v[20:21], v[8:9], v[14:15], v[6:7]
	ds_load_b128 v[6:9], v96 offset:16128
	ds_load_b128 v[14:17], v96 offset:17136
	s_wait_loadcnt 0x0
	scratch_store_b128 off, v[24:27], off offset:1012 ; 16-byte Folded Spill
	s_wait_dscnt 0x1
	v_mul_f64_e32 v[18:19], v[8:9], v[26:27]
	s_delay_alu instid0(VALU_DEP_1) | instskip(SKIP_1) | instid1(VALU_DEP_1)
	v_fma_f64 v[22:23], v[6:7], v[24:25], -v[18:19]
	v_mul_f64_e32 v[6:7], v[6:7], v[26:27]
	v_fma_f64 v[24:25], v[8:9], v[24:25], v[6:7]
	v_and_b32_e32 v6, 0xff, v180
	s_delay_alu instid0(VALU_DEP_1) | instskip(NEXT) | instid1(VALU_DEP_1)
	v_mul_lo_u16 v6, 0xab, v6
	v_lshrrev_b16 v66, 12, v6
	s_delay_alu instid0(VALU_DEP_1) | instskip(NEXT) | instid1(VALU_DEP_1)
	v_mul_lo_u16 v6, v66, 24
	v_sub_nc_u16 v6, v180, v6
	s_delay_alu instid0(VALU_DEP_1) | instskip(NEXT) | instid1(VALU_DEP_1)
	v_and_b32_e32 v67, 0xff, v6
	v_lshlrev_b32_e32 v6, 5, v67
	s_clause 0x1
	global_load_b128 v[28:31], v6, s[10:11] offset:352
	global_load_b128 v[32:35], v6, s[10:11] offset:368
	s_wait_loadcnt 0x1
	v_mul_f64_e32 v[6:7], v[12:13], v[30:31]
	scratch_store_b128 off, v[28:31], off offset:1140 ; 16-byte Folded Spill
	s_wait_loadcnt 0x0
	scratch_store_b128 off, v[32:35], off offset:1060 ; 16-byte Folded Spill
	v_fma_f64 v[26:27], v[10:11], v[28:29], -v[6:7]
	v_mul_f64_e32 v[6:7], v[10:11], v[30:31]
	s_delay_alu instid0(VALU_DEP_1) | instskip(SKIP_2) | instid1(VALU_DEP_1)
	v_fma_f64 v[28:29], v[12:13], v[28:29], v[6:7]
	s_wait_dscnt 0x0
	v_mul_f64_e32 v[6:7], v[16:17], v[34:35]
	v_fma_f64 v[30:31], v[14:15], v[32:33], -v[6:7]
	v_mul_f64_e32 v[6:7], v[14:15], v[34:35]
	s_delay_alu instid0(VALU_DEP_1) | instskip(SKIP_1) | instid1(VALU_DEP_1)
	v_fma_f64 v[32:33], v[16:17], v[32:33], v[6:7]
	v_mul_lo_u16 v6, 0xab, v68
	v_lshrrev_b16 v69, 12, v6
	s_delay_alu instid0(VALU_DEP_1) | instskip(NEXT) | instid1(VALU_DEP_1)
	v_mul_lo_u16 v6, v69, 24
	v_sub_nc_u16 v6, v181, v6
	s_delay_alu instid0(VALU_DEP_1) | instskip(NEXT) | instid1(VALU_DEP_1)
	v_and_b32_e32 v70, 0xff, v6
	v_lshlrev_b32_e32 v6, 5, v70
	s_clause 0x1
	global_load_b128 v[16:19], v6, s[10:11] offset:352
	global_load_b128 v[34:37], v6, s[10:11] offset:368
	ds_load_b128 v[6:9], v96 offset:10080
	ds_load_b128 v[10:13], v96 offset:11088
	s_wait_loadcnt_dscnt 0x101
	v_mul_f64_e32 v[14:15], v[8:9], v[18:19]
	scratch_store_b128 off, v[16:19], off offset:1044 ; 16-byte Folded Spill
	v_fma_f64 v[40:41], v[6:7], v[16:17], -v[14:15]
	v_mul_f64_e32 v[6:7], v[6:7], v[18:19]
	s_delay_alu instid0(VALU_DEP_1)
	v_fma_f64 v[42:43], v[8:9], v[16:17], v[6:7]
	ds_load_b128 v[6:9], v96 offset:18144
	ds_load_b128 v[14:17], v96 offset:19152
	s_wait_loadcnt 0x0
	scratch_store_b128 off, v[34:37], off offset:996 ; 16-byte Folded Spill
	s_wait_dscnt 0x1
	v_mul_f64_e32 v[18:19], v[8:9], v[36:37]
	s_delay_alu instid0(VALU_DEP_1) | instskip(SKIP_1) | instid1(VALU_DEP_1)
	v_fma_f64 v[44:45], v[6:7], v[34:35], -v[18:19]
	v_mul_f64_e32 v[6:7], v[6:7], v[36:37]
	v_fma_f64 v[46:47], v[8:9], v[34:35], v[6:7]
	v_mul_lo_u16 v6, 0xab, v71
	s_delay_alu instid0(VALU_DEP_1) | instskip(NEXT) | instid1(VALU_DEP_1)
	v_lshrrev_b16 v72, 12, v6
	v_mul_lo_u16 v6, v72, 24
	s_delay_alu instid0(VALU_DEP_1) | instskip(NEXT) | instid1(VALU_DEP_1)
	v_sub_nc_u16 v6, v99, v6
	v_and_b32_e32 v73, 0xff, v6
	s_delay_alu instid0(VALU_DEP_1)
	v_lshlrev_b32_e32 v6, 5, v73
	s_clause 0x1
	global_load_b128 v[50:53], v6, s[10:11] offset:352
	global_load_b128 v[34:37], v6, s[10:11] offset:368
	s_wait_loadcnt 0x1
	v_mul_f64_e32 v[6:7], v[12:13], v[52:53]
	scratch_store_b128 off, v[50:53], off offset:1092 ; 16-byte Folded Spill
	s_wait_loadcnt 0x0
	scratch_store_b128 off, v[34:37], off offset:1076 ; 16-byte Folded Spill
	v_fma_f64 v[48:49], v[10:11], v[50:51], -v[6:7]
	v_mul_f64_e32 v[6:7], v[10:11], v[52:53]
	s_delay_alu instid0(VALU_DEP_1) | instskip(SKIP_2) | instid1(VALU_DEP_1)
	v_fma_f64 v[50:51], v[12:13], v[50:51], v[6:7]
	s_wait_dscnt 0x0
	v_mul_f64_e32 v[6:7], v[16:17], v[36:37]
	v_fma_f64 v[52:53], v[14:15], v[34:35], -v[6:7]
	v_mul_f64_e32 v[6:7], v[14:15], v[36:37]
	s_delay_alu instid0(VALU_DEP_1) | instskip(SKIP_1) | instid1(VALU_DEP_1)
	v_fma_f64 v[54:55], v[16:17], v[34:35], v[6:7]
	v_mul_u32_u24_e32 v6, 0xaaab, v74
	v_lshrrev_b32_e32 v75, 20, v6
	s_delay_alu instid0(VALU_DEP_1) | instskip(NEXT) | instid1(VALU_DEP_1)
	v_mul_lo_u16 v6, v75, 24
	v_sub_nc_u16 v84, v5, v6
	s_delay_alu instid0(VALU_DEP_1) | instskip(NEXT) | instid1(VALU_DEP_1)
	v_lshlrev_b16 v6, 5, v84
	v_and_b32_e32 v6, 0xffff, v6
	s_delay_alu instid0(VALU_DEP_1)
	v_add_co_u32 v6, s14, s10, v6
	s_wait_alu 0xf1ff
	v_add_co_ci_u32_e64 v7, null, s11, 0, s14
	s_clause 0x1
	global_load_b128 v[16:19], v[6:7], off offset:352
	global_load_b128 v[34:37], v[6:7], off offset:368
	ds_load_b128 v[6:9], v96 offset:12096
	ds_load_b128 v[10:13], v96 offset:13104
	s_wait_loadcnt_dscnt 0x101
	v_mul_f64_e32 v[14:15], v[8:9], v[18:19]
	scratch_store_b128 off, v[16:19], off offset:1108 ; 16-byte Folded Spill
	v_fma_f64 v[80:81], v[6:7], v[16:17], -v[14:15]
	v_mul_f64_e32 v[6:7], v[6:7], v[18:19]
	s_delay_alu instid0(VALU_DEP_1)
	v_fma_f64 v[82:83], v[8:9], v[16:17], v[6:7]
	ds_load_b128 v[6:9], v96 offset:20160
	ds_load_b128 v[14:17], v96 offset:21168
	s_wait_loadcnt 0x0
	scratch_store_b128 off, v[34:37], off offset:1028 ; 16-byte Folded Spill
	s_wait_dscnt 0x1
	v_mul_f64_e32 v[18:19], v[8:9], v[36:37]
	s_delay_alu instid0(VALU_DEP_1) | instskip(SKIP_1) | instid1(VALU_DEP_1)
	v_fma_f64 v[185:186], v[6:7], v[34:35], -v[18:19]
	v_mul_f64_e32 v[6:7], v[6:7], v[36:37]
	v_fma_f64 v[187:188], v[8:9], v[34:35], v[6:7]
	v_mul_u32_u24_e32 v6, 0xaaab, v85
	s_delay_alu instid0(VALU_DEP_1) | instskip(NEXT) | instid1(VALU_DEP_1)
	v_lshrrev_b32_e32 v86, 20, v6
	v_mul_lo_u16 v6, v86, 24
	s_delay_alu instid0(VALU_DEP_1) | instskip(NEXT) | instid1(VALU_DEP_1)
	v_sub_nc_u16 v87, v4, v6
	v_lshlrev_b16 v6, 5, v87
	s_delay_alu instid0(VALU_DEP_1) | instskip(NEXT) | instid1(VALU_DEP_1)
	v_and_b32_e32 v6, 0xffff, v6
	v_add_co_u32 v6, s14, s10, v6
	s_wait_alu 0xf1ff
	v_add_co_ci_u32_e64 v7, null, s11, 0, s14
	s_clause 0x1
	global_load_b128 v[56:59], v[6:7], off offset:352
	global_load_b128 v[34:37], v[6:7], off offset:368
	v_add_f64_e32 v[197:198], v[82:83], v[187:188]
	s_wait_loadcnt 0x1
	v_mul_f64_e32 v[6:7], v[12:13], v[58:59]
	scratch_store_b128 off, v[56:59], off offset:1188 ; 16-byte Folded Spill
	s_wait_loadcnt 0x0
	scratch_store_b128 off, v[34:37], off offset:1172 ; 16-byte Folded Spill
	v_fma_f64 v[189:190], v[10:11], v[56:57], -v[6:7]
	v_mul_f64_e32 v[6:7], v[10:11], v[58:59]
	s_delay_alu instid0(VALU_DEP_1) | instskip(SKIP_2) | instid1(VALU_DEP_1)
	v_fma_f64 v[191:192], v[12:13], v[56:57], v[6:7]
	s_wait_dscnt 0x0
	v_mul_f64_e32 v[6:7], v[16:17], v[36:37]
	v_fma_f64 v[193:194], v[14:15], v[34:35], -v[6:7]
	v_mul_f64_e32 v[6:7], v[14:15], v[36:37]
	s_delay_alu instid0(VALU_DEP_1) | instskip(SKIP_1) | instid1(VALU_DEP_1)
	v_fma_f64 v[195:196], v[16:17], v[34:35], v[6:7]
	v_mul_u32_u24_e32 v6, 0xaaab, v88
	v_lshrrev_b32_e32 v89, 20, v6
	s_delay_alu instid0(VALU_DEP_1) | instskip(NEXT) | instid1(VALU_DEP_1)
	v_mul_lo_u16 v6, v89, 24
	v_sub_nc_u16 v90, v3, v6
	s_delay_alu instid0(VALU_DEP_1) | instskip(NEXT) | instid1(VALU_DEP_1)
	v_lshlrev_b16 v6, 5, v90
	v_and_b32_e32 v6, 0xffff, v6
	s_delay_alu instid0(VALU_DEP_1)
	v_add_co_u32 v6, s14, s10, v6
	s_wait_alu 0xf1ff
	v_add_co_ci_u32_e64 v7, null, s11, 0, s14
	s_clause 0x1
	global_load_b128 v[16:19], v[6:7], off offset:352
	global_load_b128 v[34:37], v[6:7], off offset:368
	ds_load_b128 v[6:9], v96 offset:14112
	ds_load_b128 v[12:15], v96 offset:15120
	s_wait_loadcnt_dscnt 0x101
	v_mul_f64_e32 v[10:11], v[8:9], v[18:19]
	scratch_store_b128 off, v[16:19], off offset:1204 ; 16-byte Folded Spill
	v_fma_f64 v[205:206], v[6:7], v[16:17], -v[10:11]
	v_mul_f64_e32 v[6:7], v[6:7], v[18:19]
	s_delay_alu instid0(VALU_DEP_1)
	v_fma_f64 v[207:208], v[8:9], v[16:17], v[6:7]
	ds_load_b128 v[6:9], v96 offset:22176
	ds_load_b128 v[16:19], v96 offset:23184
	s_wait_loadcnt 0x0
	scratch_store_b128 off, v[34:37], off offset:1124 ; 16-byte Folded Spill
	s_wait_dscnt 0x1
	v_mul_f64_e32 v[10:11], v[8:9], v[36:37]
	s_delay_alu instid0(VALU_DEP_1) | instskip(SKIP_2) | instid1(VALU_DEP_2)
	v_fma_f64 v[209:210], v[6:7], v[34:35], -v[10:11]
	v_mul_f64_e32 v[6:7], v[6:7], v[36:37]
	v_and_b32_e32 v11, 0xffff, v2
	v_fma_f64 v[211:212], v[8:9], v[34:35], v[6:7]
	s_delay_alu instid0(VALU_DEP_2) | instskip(SKIP_1) | instid1(VALU_DEP_2)
	v_mul_u32_u24_e32 v6, 0xaaab, v11
	v_mul_u32_u24_e32 v11, 0xe38f, v11
	v_lshrrev_b32_e32 v10, 20, v6
	s_delay_alu instid0(VALU_DEP_2) | instskip(NEXT) | instid1(VALU_DEP_2)
	v_lshrrev_b32_e32 v11, 22, v11
	v_mul_lo_u16 v6, v10, 24
	s_delay_alu instid0(VALU_DEP_2) | instskip(NEXT) | instid1(VALU_DEP_2)
	v_mul_lo_u16 v11, 0x48, v11
	v_sub_nc_u16 v91, v2, v6
	s_delay_alu instid0(VALU_DEP_2) | instskip(NEXT) | instid1(VALU_DEP_2)
	v_sub_nc_u16 v2, v2, v11
	v_lshlrev_b16 v6, 5, v91
	s_delay_alu instid0(VALU_DEP_2) | instskip(SKIP_1) | instid1(VALU_DEP_3)
	v_lshlrev_b16 v11, 5, v2
	v_and_b32_e32 v2, 0xffff, v2
	v_and_b32_e32 v6, 0xffff, v6
	s_delay_alu instid0(VALU_DEP_3) | instskip(NEXT) | instid1(VALU_DEP_2)
	v_and_b32_e32 v11, 0xffff, v11
	v_add_co_u32 v6, s14, s10, v6
	s_wait_alu 0xf1ff
	v_add_co_ci_u32_e64 v7, null, s11, 0, s14
	s_clause 0x1
	global_load_b128 v[56:59], v[6:7], off offset:352
	global_load_b128 v[34:37], v[6:7], off offset:368
	v_add_f64_e32 v[221:222], v[207:208], v[211:212]
	s_wait_loadcnt 0x1
	v_mul_f64_e32 v[6:7], v[14:15], v[58:59]
	scratch_store_b128 off, v[56:59], off offset:1236 ; 16-byte Folded Spill
	s_wait_loadcnt 0x0
	scratch_store_b128 off, v[34:37], off offset:1220 ; 16-byte Folded Spill
	v_fma_f64 v[213:214], v[12:13], v[56:57], -v[6:7]
	v_mul_f64_e32 v[6:7], v[12:13], v[58:59]
	s_delay_alu instid0(VALU_DEP_1) | instskip(SKIP_3) | instid1(VALU_DEP_2)
	v_fma_f64 v[215:216], v[14:15], v[56:57], v[6:7]
	s_wait_dscnt 0x0
	v_mul_f64_e32 v[6:7], v[18:19], v[36:37]
	v_add_f64_e32 v[56:57], v[42:43], v[46:47]
	v_fma_f64 v[217:218], v[16:17], v[34:35], -v[6:7]
	v_mul_f64_e32 v[6:7], v[16:17], v[36:37]
	v_add_f64_e32 v[16:17], v[0:1], v[22:23]
	s_delay_alu instid0(VALU_DEP_2)
	v_fma_f64 v[219:220], v[18:19], v[34:35], v[6:7]
	ds_load_b128 v[6:9], v96
	ds_load_b128 v[12:15], v96 offset:1008
	s_wait_dscnt 0x1
	v_fma_f64 v[18:19], v[16:17], -0.5, v[6:7]
	v_add_f64_e32 v[16:17], v[20:21], v[24:25]
	v_add_f64_e32 v[6:7], v[6:7], v[0:1]
	v_add_f64_e64 v[0:1], v[0:1], -v[22:23]
	s_delay_alu instid0(VALU_DEP_3) | instskip(SKIP_3) | instid1(VALU_DEP_4)
	v_fma_f64 v[34:35], v[16:17], -0.5, v[8:9]
	v_add_f64_e32 v[8:9], v[8:9], v[20:21]
	v_add_f64_e64 v[20:21], v[20:21], -v[24:25]
	v_add_f64_e32 v[6:7], v[6:7], v[22:23]
	v_fma_f64 v[22:23], v[0:1], s[2:3], v[34:35]
	s_delay_alu instid0(VALU_DEP_4) | instskip(NEXT) | instid1(VALU_DEP_4)
	v_add_f64_e32 v[8:9], v[8:9], v[24:25]
	v_fma_f64 v[16:17], v[20:21], s[2:3], v[18:19]
	v_fma_f64 v[20:21], v[20:21], s[12:13], v[18:19]
	;; [unrolled: 1-line block ×3, first 2 shown]
	v_add_f64_e32 v[0:1], v[26:27], v[30:31]
	v_add_f64_e32 v[24:25], v[28:29], v[32:33]
	s_wait_dscnt 0x0
	s_delay_alu instid0(VALU_DEP_2) | instskip(SKIP_1) | instid1(VALU_DEP_3)
	v_fma_f64 v[0:1], v[0:1], -0.5, v[12:13]
	v_add_f64_e32 v[12:13], v[12:13], v[26:27]
	v_fma_f64 v[34:35], v[24:25], -0.5, v[14:15]
	v_add_f64_e32 v[14:15], v[14:15], v[28:29]
	v_add_f64_e64 v[28:29], v[28:29], -v[32:33]
	s_delay_alu instid0(VALU_DEP_4) | instskip(SKIP_1) | instid1(VALU_DEP_4)
	v_add_f64_e32 v[12:13], v[12:13], v[30:31]
	v_add_f64_e64 v[30:31], v[26:27], -v[30:31]
	v_add_f64_e32 v[14:15], v[14:15], v[32:33]
	s_delay_alu instid0(VALU_DEP_4)
	v_fma_f64 v[24:25], v[28:29], s[2:3], v[0:1]
	v_fma_f64 v[28:29], v[28:29], s[12:13], v[0:1]
	v_add_f64_e32 v[0:1], v[40:41], v[44:45]
	v_fma_f64 v[26:27], v[30:31], s[12:13], v[34:35]
	v_fma_f64 v[30:31], v[30:31], s[2:3], v[34:35]
	ds_load_b128 v[32:35], v96 offset:2016
	ds_load_b128 v[36:39], v96 offset:3024
	s_wait_dscnt 0x1
	v_fma_f64 v[56:57], v[56:57], -0.5, v[34:35]
	v_add_f64_e32 v[34:35], v[34:35], v[42:43]
	v_fma_f64 v[0:1], v[0:1], -0.5, v[32:33]
	v_add_f64_e32 v[32:33], v[32:33], v[40:41]
	v_add_f64_e64 v[42:43], v[42:43], -v[46:47]
	s_delay_alu instid0(VALU_DEP_4) | instskip(SKIP_1) | instid1(VALU_DEP_4)
	v_add_f64_e32 v[34:35], v[34:35], v[46:47]
	v_add_f64_e64 v[46:47], v[40:41], -v[44:45]
	v_add_f64_e32 v[32:33], v[32:33], v[44:45]
	s_delay_alu instid0(VALU_DEP_4)
	v_fma_f64 v[40:41], v[42:43], s[2:3], v[0:1]
	v_fma_f64 v[44:45], v[42:43], s[12:13], v[0:1]
	v_add_f64_e32 v[0:1], v[48:49], v[52:53]
	v_fma_f64 v[42:43], v[46:47], s[12:13], v[56:57]
	v_fma_f64 v[46:47], v[46:47], s[2:3], v[56:57]
	v_add_f64_e32 v[56:57], v[50:51], v[54:55]
	s_wait_dscnt 0x0
	s_delay_alu instid0(VALU_DEP_4) | instskip(SKIP_1) | instid1(VALU_DEP_3)
	v_fma_f64 v[0:1], v[0:1], -0.5, v[36:37]
	v_add_f64_e32 v[36:37], v[36:37], v[48:49]
	v_fma_f64 v[56:57], v[56:57], -0.5, v[38:39]
	v_add_f64_e32 v[38:39], v[38:39], v[50:51]
	v_add_f64_e64 v[50:51], v[50:51], -v[54:55]
	s_delay_alu instid0(VALU_DEP_4) | instskip(NEXT) | instid1(VALU_DEP_3)
	v_add_f64_e32 v[36:37], v[36:37], v[52:53]
	v_add_f64_e32 v[38:39], v[38:39], v[54:55]
	v_add_f64_e64 v[54:55], v[48:49], -v[52:53]
	s_delay_alu instid0(VALU_DEP_4) | instskip(SKIP_2) | instid1(VALU_DEP_4)
	v_fma_f64 v[48:49], v[50:51], s[2:3], v[0:1]
	v_fma_f64 v[52:53], v[50:51], s[12:13], v[0:1]
	v_add_f64_e32 v[0:1], v[80:81], v[185:186]
	v_fma_f64 v[50:51], v[54:55], s[12:13], v[56:57]
	v_fma_f64 v[54:55], v[54:55], s[2:3], v[56:57]
	ds_load_b128 v[56:59], v96 offset:4032
	ds_load_b128 v[60:63], v96 offset:5040
	s_wait_dscnt 0x1
	v_fma_f64 v[197:198], v[197:198], -0.5, v[58:59]
	v_add_f64_e32 v[58:59], v[58:59], v[82:83]
	v_fma_f64 v[0:1], v[0:1], -0.5, v[56:57]
	v_add_f64_e32 v[56:57], v[56:57], v[80:81]
	v_add_f64_e64 v[82:83], v[82:83], -v[187:188]
	s_delay_alu instid0(VALU_DEP_4) | instskip(SKIP_1) | instid1(VALU_DEP_4)
	v_add_f64_e32 v[58:59], v[58:59], v[187:188]
	v_add_f64_e64 v[187:188], v[80:81], -v[185:186]
	v_add_f64_e32 v[56:57], v[56:57], v[185:186]
	s_delay_alu instid0(VALU_DEP_4)
	v_fma_f64 v[80:81], v[82:83], s[2:3], v[0:1]
	v_fma_f64 v[185:186], v[82:83], s[12:13], v[0:1]
	v_add_f64_e32 v[0:1], v[189:190], v[193:194]
	v_fma_f64 v[82:83], v[187:188], s[12:13], v[197:198]
	v_fma_f64 v[187:188], v[187:188], s[2:3], v[197:198]
	v_add_f64_e32 v[197:198], v[191:192], v[195:196]
	s_wait_dscnt 0x0
	s_delay_alu instid0(VALU_DEP_4) | instskip(SKIP_1) | instid1(VALU_DEP_3)
	v_fma_f64 v[0:1], v[0:1], -0.5, v[60:61]
	v_add_f64_e32 v[60:61], v[60:61], v[189:190]
	v_fma_f64 v[197:198], v[197:198], -0.5, v[62:63]
	v_add_f64_e32 v[62:63], v[62:63], v[191:192]
	v_add_f64_e64 v[191:192], v[191:192], -v[195:196]
	s_delay_alu instid0(VALU_DEP_4) | instskip(NEXT) | instid1(VALU_DEP_3)
	v_add_f64_e32 v[60:61], v[60:61], v[193:194]
	v_add_f64_e32 v[62:63], v[62:63], v[195:196]
	v_add_f64_e64 v[195:196], v[189:190], -v[193:194]
	s_delay_alu instid0(VALU_DEP_4) | instskip(SKIP_2) | instid1(VALU_DEP_4)
	v_fma_f64 v[189:190], v[191:192], s[2:3], v[0:1]
	v_fma_f64 v[193:194], v[191:192], s[12:13], v[0:1]
	v_add_f64_e32 v[0:1], v[205:206], v[209:210]
	v_fma_f64 v[191:192], v[195:196], s[12:13], v[197:198]
	v_fma_f64 v[195:196], v[195:196], s[2:3], v[197:198]
	ds_load_b128 v[197:200], v96 offset:6048
	ds_load_b128 v[201:204], v96 offset:7056
	global_wb scope:SCOPE_SE
	s_wait_storecnt_dscnt 0x0
	s_barrier_signal -1
	s_barrier_wait -1
	global_inv scope:SCOPE_SE
	v_fma_f64 v[221:222], v[221:222], -0.5, v[199:200]
	v_add_f64_e32 v[199:200], v[199:200], v[207:208]
	v_fma_f64 v[0:1], v[0:1], -0.5, v[197:198]
	v_add_f64_e32 v[197:198], v[197:198], v[205:206]
	v_add_f64_e64 v[207:208], v[207:208], -v[211:212]
	s_delay_alu instid0(VALU_DEP_4) | instskip(SKIP_1) | instid1(VALU_DEP_4)
	v_add_f64_e32 v[199:200], v[199:200], v[211:212]
	v_add_f64_e64 v[211:212], v[205:206], -v[209:210]
	v_add_f64_e32 v[197:198], v[197:198], v[209:210]
	s_delay_alu instid0(VALU_DEP_4)
	v_fma_f64 v[205:206], v[207:208], s[2:3], v[0:1]
	v_fma_f64 v[209:210], v[207:208], s[12:13], v[0:1]
	v_add_f64_e32 v[0:1], v[213:214], v[217:218]
	v_fma_f64 v[207:208], v[211:212], s[12:13], v[221:222]
	v_fma_f64 v[211:212], v[211:212], s[2:3], v[221:222]
	v_add_f64_e32 v[221:222], v[215:216], v[219:220]
	s_delay_alu instid0(VALU_DEP_4) | instskip(SKIP_1) | instid1(VALU_DEP_3)
	v_fma_f64 v[0:1], v[0:1], -0.5, v[201:202]
	v_add_f64_e32 v[201:202], v[201:202], v[213:214]
	v_fma_f64 v[221:222], v[221:222], -0.5, v[203:204]
	v_add_f64_e32 v[203:204], v[203:204], v[215:216]
	v_add_f64_e64 v[215:216], v[215:216], -v[219:220]
	s_delay_alu instid0(VALU_DEP_4) | instskip(NEXT) | instid1(VALU_DEP_3)
	v_add_f64_e32 v[201:202], v[201:202], v[217:218]
	v_add_f64_e32 v[203:204], v[203:204], v[219:220]
	v_add_f64_e64 v[219:220], v[213:214], -v[217:218]
	s_delay_alu instid0(VALU_DEP_4) | instskip(SKIP_2) | instid1(VALU_DEP_1)
	v_fma_f64 v[213:214], v[215:216], s[2:3], v[0:1]
	v_fma_f64 v[217:218], v[215:216], s[12:13], v[0:1]
	v_mul_lo_u16 v0, 0x48, v64
	v_and_b32_e32 v0, 0xf8, v0
	s_delay_alu instid0(VALU_DEP_1)
	v_add_lshl_u32 v0, v0, v65, 4
	ds_store_b128 v0, v[6:9]
	ds_store_b128 v0, v[16:19] offset:384
	scratch_store_b32 off, v0, off offset:752 ; 4-byte Folded Spill
	ds_store_b128 v0, v[20:23] offset:768
	v_and_b32_e32 v0, 0xffff, v66
	s_delay_alu instid0(VALU_DEP_1) | instskip(NEXT) | instid1(VALU_DEP_1)
	v_mul_u32_u24_e32 v0, 0x48, v0
	v_add_lshl_u32 v0, v0, v67, 4
	ds_store_b128 v0, v[12:15]
	ds_store_b128 v0, v[24:27] offset:384
	scratch_store_b32 off, v0, off offset:748 ; 4-byte Folded Spill
	ds_store_b128 v0, v[28:31] offset:768
	v_and_b32_e32 v0, 0xffff, v69
	v_fma_f64 v[215:216], v[219:220], s[12:13], v[221:222]
	v_fma_f64 v[219:220], v[219:220], s[2:3], v[221:222]
	s_delay_alu instid0(VALU_DEP_3) | instskip(NEXT) | instid1(VALU_DEP_1)
	v_mul_u32_u24_e32 v0, 0x48, v0
	v_add_lshl_u32 v0, v0, v70, 4
	ds_store_b128 v0, v[32:35]
	ds_store_b128 v0, v[40:43] offset:384
	scratch_store_b32 off, v0, off offset:744 ; 4-byte Folded Spill
	ds_store_b128 v0, v[44:47] offset:768
	v_and_b32_e32 v0, 0xffff, v72
	s_delay_alu instid0(VALU_DEP_1) | instskip(NEXT) | instid1(VALU_DEP_1)
	v_mul_u32_u24_e32 v0, 0x48, v0
	v_add_lshl_u32 v0, v0, v73, 4
	ds_store_b128 v0, v[36:39]
	ds_store_b128 v0, v[48:51] offset:384
	scratch_store_b32 off, v0, off offset:708 ; 4-byte Folded Spill
	ds_store_b128 v0, v[52:55] offset:768
	v_mad_u16 v0, 0x48, v75, v84
	s_delay_alu instid0(VALU_DEP_1) | instskip(NEXT) | instid1(VALU_DEP_1)
	v_and_b32_e32 v0, 0xffff, v0
	v_lshlrev_b32_e32 v0, 4, v0
	ds_store_b128 v0, v[56:59]
	ds_store_b128 v0, v[80:83] offset:384
	scratch_store_b32 off, v0, off offset:704 ; 4-byte Folded Spill
	ds_store_b128 v0, v[185:188] offset:768
	v_mad_u16 v0, 0x48, v86, v87
	s_delay_alu instid0(VALU_DEP_1) | instskip(NEXT) | instid1(VALU_DEP_1)
	v_and_b32_e32 v0, 0xffff, v0
	v_lshlrev_b32_e32 v0, 4, v0
	;; [unrolled: 8-line block ×4, first 2 shown]
	ds_store_b128 v0, v[201:204]
	ds_store_b128 v0, v[213:216] offset:384
	scratch_store_b32 off, v0, off offset:692 ; 4-byte Folded Spill
	ds_store_b128 v0, v[217:220] offset:768
	global_wb scope:SCOPE_SE
	s_wait_storecnt_dscnt 0x0
	s_barrier_signal -1
	s_barrier_wait -1
	global_inv scope:SCOPE_SE
	s_clause 0x1
	global_load_b128 v[16:19], v223, s[10:11] offset:1120
	global_load_b128 v[20:23], v223, s[10:11] offset:1136
	ds_load_b128 v[6:9], v96 offset:8064
	ds_load_b128 v[12:15], v96 offset:9072
	s_wait_loadcnt_dscnt 0x101
	v_mul_f64_e32 v[0:1], v[8:9], v[18:19]
	scratch_store_b128 off, v[16:19], off offset:408 ; 16-byte Folded Spill
	v_fma_f64 v[25:26], v[6:7], v[16:17], -v[0:1]
	v_mul_f64_e32 v[0:1], v[6:7], v[18:19]
	s_delay_alu instid0(VALU_DEP_1)
	v_fma_f64 v[27:28], v[8:9], v[16:17], v[0:1]
	ds_load_b128 v[6:9], v96 offset:16128
	ds_load_b128 v[16:19], v96 offset:17136
	s_wait_loadcnt 0x0
	scratch_store_b128 off, v[20:23], off offset:392 ; 16-byte Folded Spill
	s_wait_dscnt 0x1
	v_mul_f64_e32 v[0:1], v[8:9], v[22:23]
	s_delay_alu instid0(VALU_DEP_1) | instskip(SKIP_1) | instid1(VALU_DEP_1)
	v_fma_f64 v[29:30], v[6:7], v[20:21], -v[0:1]
	v_mul_f64_e32 v[0:1], v[6:7], v[22:23]
	v_fma_f64 v[31:32], v[8:9], v[20:21], v[0:1]
	v_add_co_u32 v0, s14, v97, -9
	s_wait_alu 0xf1ff
	v_add_co_ci_u32_e64 v1, null, 0, -1, s14
	s_delay_alu instid0(VALU_DEP_1) | instskip(NEXT) | instid1(VALU_DEP_1)
	v_dual_cndmask_b32 v0, v0, v180 :: v_dual_cndmask_b32 v1, v1, v182
	v_lshlrev_b64_e32 v[6:7], 5, v[0:1]
	v_mul_lo_u16 v1, v68, 57
	s_delay_alu instid0(VALU_DEP_2) | instskip(SKIP_1) | instid1(VALU_DEP_3)
	v_add_co_u32 v6, vcc_lo, s10, v6
	s_wait_alu 0xfffd
	v_add_co_ci_u32_e32 v7, vcc_lo, s11, v7, vcc_lo
	s_clause 0x1
	global_load_b128 v[35:38], v[6:7], off offset:1120
	global_load_b128 v[20:23], v[6:7], off offset:1136
	v_lshrrev_b16 v1, 12, v1
	v_cmp_lt_u16_e64 vcc_lo, 8, v184
	s_wait_loadcnt 0x1
	v_mul_f64_e32 v[6:7], v[14:15], v[37:38]
	scratch_store_b128 off, v[35:38], off offset:440 ; 16-byte Folded Spill
	s_wait_loadcnt 0x0
	scratch_store_b128 off, v[20:23], off offset:424 ; 16-byte Folded Spill
	v_fma_f64 v[33:34], v[12:13], v[35:36], -v[6:7]
	v_mul_f64_e32 v[6:7], v[12:13], v[37:38]
	s_delay_alu instid0(VALU_DEP_1) | instskip(SKIP_2) | instid1(VALU_DEP_1)
	v_fma_f64 v[35:36], v[14:15], v[35:36], v[6:7]
	s_wait_dscnt 0x0
	v_mul_f64_e32 v[6:7], v[18:19], v[22:23]
	v_fma_f64 v[37:38], v[16:17], v[20:21], -v[6:7]
	v_mul_f64_e32 v[6:7], v[16:17], v[22:23]
	s_delay_alu instid0(VALU_DEP_1) | instskip(SKIP_1) | instid1(VALU_DEP_1)
	v_fma_f64 v[39:40], v[18:19], v[20:21], v[6:7]
	v_mul_lo_u16 v6, 0x48, v1
	v_sub_nc_u16 v6, v181, v6
	s_delay_alu instid0(VALU_DEP_1) | instskip(NEXT) | instid1(VALU_DEP_1)
	v_and_b32_e32 v6, 0xff, v6
	v_lshlrev_b32_e32 v7, 5, v6
	s_clause 0x1
	global_load_b128 v[18:21], v7, s[10:11] offset:1120
	global_load_b128 v[41:44], v7, s[10:11] offset:1136
	ds_load_b128 v[7:10], v96 offset:10080
	ds_load_b128 v[12:15], v96 offset:11088
	s_wait_loadcnt_dscnt 0x101
	v_mul_f64_e32 v[16:17], v[9:10], v[20:21]
	scratch_store_b128 off, v[18:21], off offset:456 ; 16-byte Folded Spill
	v_fma_f64 v[45:46], v[7:8], v[18:19], -v[16:17]
	v_mul_f64_e32 v[7:8], v[7:8], v[20:21]
	s_delay_alu instid0(VALU_DEP_1)
	v_fma_f64 v[47:48], v[9:10], v[18:19], v[7:8]
	ds_load_b128 v[7:10], v96 offset:18144
	ds_load_b128 v[16:19], v96 offset:19152
	s_wait_loadcnt 0x0
	scratch_store_b128 off, v[41:44], off offset:472 ; 16-byte Folded Spill
	s_wait_dscnt 0x1
	v_mul_f64_e32 v[20:21], v[9:10], v[43:44]
	s_delay_alu instid0(VALU_DEP_1) | instskip(SKIP_1) | instid1(VALU_DEP_2)
	v_fma_f64 v[49:50], v[7:8], v[41:42], -v[20:21]
	v_mul_f64_e32 v[7:8], v[7:8], v[43:44]
	v_add_f64_e32 v[80:81], v[45:46], v[49:50]
	s_delay_alu instid0(VALU_DEP_2) | instskip(SKIP_1) | instid1(VALU_DEP_1)
	v_fma_f64 v[51:52], v[9:10], v[41:42], v[7:8]
	v_mul_lo_u16 v7, v71, 57
	v_lshrrev_b16 v8, 12, v7
	s_delay_alu instid0(VALU_DEP_1) | instskip(NEXT) | instid1(VALU_DEP_1)
	v_mul_lo_u16 v7, 0x48, v8
	v_sub_nc_u16 v7, v99, v7
	s_delay_alu instid0(VALU_DEP_1) | instskip(NEXT) | instid1(VALU_DEP_1)
	v_and_b32_e32 v9, 0xff, v7
	v_lshlrev_b32_e32 v7, 5, v9
	s_clause 0x1
	global_load_b128 v[55:58], v7, s[10:11] offset:1120
	global_load_b128 v[41:44], v7, s[10:11] offset:1136
	v_mul_u32_u24_e32 v7, 0xe38f, v74
	s_delay_alu instid0(VALU_DEP_1) | instskip(SKIP_1) | instid1(VALU_DEP_2)
	v_lshrrev_b32_e32 v7, 22, v7
	v_add_f64_e32 v[82:83], v[47:48], v[51:52]
	v_mul_lo_u16 v10, 0x48, v7
	s_delay_alu instid0(VALU_DEP_1) | instskip(NEXT) | instid1(VALU_DEP_1)
	v_sub_nc_u16 v5, v5, v10
	v_lshlrev_b16 v10, 5, v5
	s_delay_alu instid0(VALU_DEP_1)
	v_and_b32_e32 v10, 0xffff, v10
	s_wait_loadcnt 0x1
	v_mul_f64_e32 v[20:21], v[14:15], v[57:58]
	scratch_store_b128 off, v[55:58], off offset:520 ; 16-byte Folded Spill
	s_wait_loadcnt 0x0
	scratch_store_b128 off, v[41:44], off offset:504 ; 16-byte Folded Spill
	v_fma_f64 v[53:54], v[12:13], v[55:56], -v[20:21]
	v_mul_f64_e32 v[12:13], v[12:13], v[57:58]
	s_delay_alu instid0(VALU_DEP_1) | instskip(SKIP_2) | instid1(VALU_DEP_1)
	v_fma_f64 v[55:56], v[14:15], v[55:56], v[12:13]
	s_wait_dscnt 0x0
	v_mul_f64_e32 v[12:13], v[18:19], v[43:44]
	v_fma_f64 v[57:58], v[16:17], v[41:42], -v[12:13]
	v_mul_f64_e32 v[12:13], v[16:17], v[43:44]
	s_delay_alu instid0(VALU_DEP_1)
	v_fma_f64 v[59:60], v[18:19], v[41:42], v[12:13]
	v_add_co_u32 v12, s14, s10, v10
	s_wait_alu 0xf1ff
	v_add_co_ci_u32_e64 v13, null, s11, 0, s14
	s_clause 0x1
	global_load_b128 v[41:44], v[12:13], off offset:1120
	global_load_b128 v[63:66], v[12:13], off offset:1136
	ds_load_b128 v[12:15], v96 offset:12096
	ds_load_b128 v[16:19], v96 offset:13104
	v_mul_u32_u24_e32 v10, 0xe38f, v85
	s_delay_alu instid0(VALU_DEP_1)
	v_lshrrev_b32_e32 v10, 22, v10
	s_wait_loadcnt_dscnt 0x101
	v_mul_f64_e32 v[20:21], v[14:15], v[43:44]
	scratch_store_b128 off, v[41:44], off offset:536 ; 16-byte Folded Spill
	v_fma_f64 v[61:62], v[12:13], v[41:42], -v[20:21]
	v_mul_f64_e32 v[12:13], v[12:13], v[43:44]
	s_delay_alu instid0(VALU_DEP_1)
	v_fma_f64 v[185:186], v[14:15], v[41:42], v[12:13]
	ds_load_b128 v[12:15], v96 offset:20160
	ds_load_b128 v[20:23], v96 offset:21168
	s_wait_loadcnt 0x0
	scratch_store_b128 off, v[63:66], off offset:552 ; 16-byte Folded Spill
	s_wait_dscnt 0x1
	v_mul_f64_e32 v[41:42], v[14:15], v[65:66]
	s_delay_alu instid0(VALU_DEP_1) | instskip(SKIP_1) | instid1(VALU_DEP_2)
	v_fma_f64 v[187:188], v[12:13], v[63:64], -v[41:42]
	v_mul_f64_e32 v[12:13], v[12:13], v[65:66]
	v_add_f64_e32 v[191:192], v[61:62], v[187:188]
	s_delay_alu instid0(VALU_DEP_2) | instskip(SKIP_1) | instid1(VALU_DEP_1)
	v_fma_f64 v[189:190], v[14:15], v[63:64], v[12:13]
	v_mul_lo_u16 v12, 0x48, v10
	v_sub_nc_u16 v12, v4, v12
	s_delay_alu instid0(VALU_DEP_1) | instskip(NEXT) | instid1(VALU_DEP_1)
	v_lshlrev_b16 v4, 5, v12
	v_and_b32_e32 v4, 0xffff, v4
	s_delay_alu instid0(VALU_DEP_1)
	v_add_co_u32 v13, s14, s10, v4
	s_wait_alu 0xf1ff
	v_add_co_ci_u32_e64 v14, null, s11, 0, s14
	s_clause 0x1
	global_load_b128 v[63:66], v[13:14], off offset:1120
	global_load_b128 v[41:44], v[13:14], off offset:1136
	v_mul_u32_u24_e32 v4, 0xe38f, v88
	s_delay_alu instid0(VALU_DEP_1)
	v_lshrrev_b32_e32 v4, 22, v4
	v_add_f64_e32 v[203:204], v[185:186], v[189:190]
	v_add_f64_e64 v[205:206], v[185:186], -v[189:190]
	s_wait_loadcnt 0x1
	v_mul_f64_e32 v[13:14], v[18:19], v[65:66]
	scratch_store_b128 off, v[63:66], off offset:632 ; 16-byte Folded Spill
	s_wait_loadcnt 0x0
	scratch_store_b128 off, v[41:44], off offset:616 ; 16-byte Folded Spill
	v_fma_f64 v[193:194], v[16:17], v[63:64], -v[13:14]
	v_mul_f64_e32 v[13:14], v[16:17], v[65:66]
	s_delay_alu instid0(VALU_DEP_1) | instskip(SKIP_2) | instid1(VALU_DEP_1)
	v_fma_f64 v[195:196], v[18:19], v[63:64], v[13:14]
	s_wait_dscnt 0x0
	v_mul_f64_e32 v[13:14], v[22:23], v[43:44]
	v_fma_f64 v[197:198], v[20:21], v[41:42], -v[13:14]
	v_mul_f64_e32 v[13:14], v[20:21], v[43:44]
	s_delay_alu instid0(VALU_DEP_1) | instskip(SKIP_1) | instid1(VALU_DEP_1)
	v_fma_f64 v[199:200], v[22:23], v[41:42], v[13:14]
	v_mul_lo_u16 v13, 0x48, v4
	v_sub_nc_u16 v3, v3, v13
	s_delay_alu instid0(VALU_DEP_1) | instskip(NEXT) | instid1(VALU_DEP_1)
	v_lshlrev_b16 v13, 5, v3
	v_and_b32_e32 v13, 0xffff, v13
	s_delay_alu instid0(VALU_DEP_1)
	v_add_co_u32 v13, s14, s10, v13
	s_wait_alu 0xf1ff
	v_add_co_ci_u32_e64 v14, null, s11, 0, s14
	s_clause 0x1
	global_load_b128 v[41:44], v[13:14], off offset:1120
	global_load_b128 v[63:66], v[13:14], off offset:1136
	ds_load_b128 v[13:16], v96 offset:14112
	ds_load_b128 v[17:20], v96 offset:15120
	s_wait_loadcnt_dscnt 0x101
	v_mul_f64_e32 v[21:22], v[15:16], v[43:44]
	scratch_store_b128 off, v[41:44], off offset:600 ; 16-byte Folded Spill
	v_fma_f64 v[201:202], v[13:14], v[41:42], -v[21:22]
	v_mul_f64_e32 v[13:14], v[13:14], v[43:44]
	s_delay_alu instid0(VALU_DEP_1)
	v_fma_f64 v[216:217], v[15:16], v[41:42], v[13:14]
	ds_load_b128 v[13:16], v96 offset:22176
	ds_load_b128 v[21:24], v96 offset:23184
	s_wait_loadcnt 0x0
	scratch_store_b128 off, v[63:66], off offset:488 ; 16-byte Folded Spill
	s_wait_dscnt 0x1
	v_mul_f64_e32 v[41:42], v[15:16], v[65:66]
	s_delay_alu instid0(VALU_DEP_1) | instskip(SKIP_1) | instid1(VALU_DEP_1)
	v_fma_f64 v[220:221], v[13:14], v[63:64], -v[41:42]
	v_mul_f64_e32 v[13:14], v[13:14], v[65:66]
	v_fma_f64 v[218:219], v[15:16], v[63:64], v[13:14]
	v_add_co_u32 v13, s14, s10, v11
	s_wait_alu 0xf1ff
	v_add_co_ci_u32_e64 v14, null, s11, 0, s14
	s_clause 0x1
	global_load_b128 v[63:66], v[13:14], off offset:1120
	global_load_b128 v[41:44], v[13:14], off offset:1136
	s_wait_alu 0xfffd
	v_cndmask_b32_e64 v11, 0, 0xd8, vcc_lo
	v_cmp_gt_u16_e64 vcc_lo, 27, v184
	s_delay_alu instid0(VALU_DEP_2)
	v_add_lshl_u32 v0, v0, v11, 4
	s_wait_loadcnt 0x1
	v_mul_f64_e32 v[13:14], v[19:20], v[65:66]
	scratch_store_b128 off, v[63:66], off offset:584 ; 16-byte Folded Spill
	s_wait_loadcnt 0x0
	scratch_store_b128 off, v[41:44], off offset:568 ; 16-byte Folded Spill
	v_fma_f64 v[228:229], v[17:18], v[63:64], -v[13:14]
	v_mul_f64_e32 v[13:14], v[17:18], v[65:66]
	s_delay_alu instid0(VALU_DEP_1) | instskip(SKIP_2) | instid1(VALU_DEP_1)
	v_fma_f64 v[230:231], v[19:20], v[63:64], v[13:14]
	s_wait_dscnt 0x0
	v_mul_f64_e32 v[13:14], v[23:24], v[43:44]
	v_fma_f64 v[232:233], v[21:22], v[41:42], -v[13:14]
	v_mul_f64_e32 v[13:14], v[21:22], v[43:44]
	v_add_f64_e32 v[21:22], v[25:26], v[29:30]
	s_delay_alu instid0(VALU_DEP_2)
	v_fma_f64 v[234:235], v[23:24], v[41:42], v[13:14]
	ds_load_b128 v[13:16], v96
	ds_load_b128 v[17:20], v96 offset:1008
	s_wait_dscnt 0x1
	v_fma_f64 v[23:24], v[21:22], -0.5, v[13:14]
	v_add_f64_e32 v[21:22], v[27:28], v[31:32]
	v_add_f64_e32 v[13:14], v[13:14], v[25:26]
	s_delay_alu instid0(VALU_DEP_2) | instskip(SKIP_2) | instid1(VALU_DEP_4)
	v_fma_f64 v[41:42], v[21:22], -0.5, v[15:16]
	v_add_f64_e32 v[15:16], v[15:16], v[27:28]
	v_add_f64_e64 v[27:28], v[27:28], -v[31:32]
	v_add_f64_e32 v[13:14], v[13:14], v[29:30]
	v_add_f64_e64 v[29:30], v[25:26], -v[29:30]
	s_delay_alu instid0(VALU_DEP_4) | instskip(NEXT) | instid1(VALU_DEP_4)
	v_add_f64_e32 v[15:16], v[15:16], v[31:32]
	v_fma_f64 v[21:22], v[27:28], s[2:3], v[23:24]
	v_fma_f64 v[25:26], v[27:28], s[12:13], v[23:24]
	s_delay_alu instid0(VALU_DEP_4) | instskip(SKIP_3) | instid1(VALU_DEP_1)
	v_fma_f64 v[23:24], v[29:30], s[12:13], v[41:42]
	v_fma_f64 v[27:28], v[29:30], s[2:3], v[41:42]
	v_add_f64_e32 v[29:30], v[33:34], v[37:38]
	s_wait_dscnt 0x0
	v_fma_f64 v[31:32], v[29:30], -0.5, v[17:18]
	v_add_f64_e32 v[29:30], v[35:36], v[39:40]
	v_add_f64_e32 v[17:18], v[17:18], v[33:34]
	s_delay_alu instid0(VALU_DEP_2) | instskip(SKIP_2) | instid1(VALU_DEP_4)
	v_fma_f64 v[41:42], v[29:30], -0.5, v[19:20]
	v_add_f64_e32 v[19:20], v[19:20], v[35:36]
	v_add_f64_e64 v[35:36], v[35:36], -v[39:40]
	v_add_f64_e32 v[17:18], v[17:18], v[37:38]
	v_add_f64_e64 v[37:38], v[33:34], -v[37:38]
	s_delay_alu instid0(VALU_DEP_4) | instskip(NEXT) | instid1(VALU_DEP_4)
	v_add_f64_e32 v[19:20], v[19:20], v[39:40]
	v_fma_f64 v[29:30], v[35:36], s[2:3], v[31:32]
	v_fma_f64 v[33:34], v[35:36], s[12:13], v[31:32]
	s_delay_alu instid0(VALU_DEP_4)
	v_fma_f64 v[31:32], v[37:38], s[12:13], v[41:42]
	v_fma_f64 v[35:36], v[37:38], s[2:3], v[41:42]
	ds_load_b128 v[37:40], v96 offset:2016
	ds_load_b128 v[41:44], v96 offset:3024
	s_wait_dscnt 0x1
	v_fma_f64 v[82:83], v[82:83], -0.5, v[39:40]
	v_add_f64_e32 v[39:40], v[39:40], v[47:48]
	v_fma_f64 v[80:81], v[80:81], -0.5, v[37:38]
	v_add_f64_e32 v[37:38], v[37:38], v[45:46]
	v_add_f64_e64 v[47:48], v[47:48], -v[51:52]
	s_delay_alu instid0(VALU_DEP_4) | instskip(SKIP_1) | instid1(VALU_DEP_4)
	v_add_f64_e32 v[39:40], v[39:40], v[51:52]
	v_add_f64_e64 v[51:52], v[45:46], -v[49:50]
	v_add_f64_e32 v[37:38], v[37:38], v[49:50]
	s_delay_alu instid0(VALU_DEP_4)
	v_fma_f64 v[45:46], v[47:48], s[2:3], v[80:81]
	v_fma_f64 v[49:50], v[47:48], s[12:13], v[80:81]
	v_add_f64_e32 v[80:81], v[53:54], v[57:58]
	v_fma_f64 v[47:48], v[51:52], s[12:13], v[82:83]
	v_fma_f64 v[51:52], v[51:52], s[2:3], v[82:83]
	v_add_f64_e32 v[82:83], v[55:56], v[59:60]
	s_wait_dscnt 0x0
	s_delay_alu instid0(VALU_DEP_4) | instskip(SKIP_1) | instid1(VALU_DEP_3)
	v_fma_f64 v[80:81], v[80:81], -0.5, v[41:42]
	v_add_f64_e32 v[41:42], v[41:42], v[53:54]
	v_fma_f64 v[82:83], v[82:83], -0.5, v[43:44]
	v_add_f64_e32 v[43:44], v[43:44], v[55:56]
	v_add_f64_e64 v[55:56], v[55:56], -v[59:60]
	s_delay_alu instid0(VALU_DEP_4) | instskip(NEXT) | instid1(VALU_DEP_3)
	v_add_f64_e32 v[41:42], v[41:42], v[57:58]
	v_add_f64_e32 v[43:44], v[43:44], v[59:60]
	v_add_f64_e64 v[59:60], v[53:54], -v[57:58]
	s_delay_alu instid0(VALU_DEP_4) | instskip(SKIP_1) | instid1(VALU_DEP_3)
	v_fma_f64 v[53:54], v[55:56], s[2:3], v[80:81]
	v_fma_f64 v[57:58], v[55:56], s[12:13], v[80:81]
	;; [unrolled: 1-line block ×4, first 2 shown]
	ds_load_b128 v[80:83], v96 offset:4032
	ds_load_b128 v[180:183], v96 offset:5040
	s_wait_dscnt 0x1
	v_fma_f64 v[191:192], v[191:192], -0.5, v[80:81]
	v_fma_f64 v[203:204], v[203:204], -0.5, v[82:83]
	v_add_f64_e32 v[82:83], v[82:83], v[185:186]
	v_add_f64_e32 v[80:81], v[80:81], v[61:62]
	v_add_f64_e64 v[61:62], v[61:62], -v[187:188]
	v_fma_f64 v[185:186], v[205:206], s[2:3], v[191:192]
	s_delay_alu instid0(VALU_DEP_4) | instskip(NEXT) | instid1(VALU_DEP_4)
	v_add_f64_e32 v[82:83], v[82:83], v[189:190]
	v_add_f64_e32 v[80:81], v[80:81], v[187:188]
	v_fma_f64 v[189:190], v[205:206], s[12:13], v[191:192]
	v_fma_f64 v[187:188], v[61:62], s[12:13], v[203:204]
	;; [unrolled: 1-line block ×3, first 2 shown]
	v_add_f64_e32 v[61:62], v[193:194], v[197:198]
	v_add_f64_e32 v[203:204], v[195:196], v[199:200]
	s_wait_dscnt 0x0
	s_delay_alu instid0(VALU_DEP_2) | instskip(SKIP_1) | instid1(VALU_DEP_3)
	v_fma_f64 v[61:62], v[61:62], -0.5, v[180:181]
	v_add_f64_e32 v[180:181], v[180:181], v[193:194]
	v_fma_f64 v[214:215], v[203:204], -0.5, v[182:183]
	v_add_f64_e32 v[182:183], v[182:183], v[195:196]
	v_add_f64_e64 v[195:196], v[195:196], -v[199:200]
	s_delay_alu instid0(VALU_DEP_4) | instskip(SKIP_1) | instid1(VALU_DEP_4)
	v_add_f64_e32 v[204:205], v[180:181], v[197:198]
	v_add_f64_e64 v[180:181], v[193:194], -v[197:198]
	v_add_f64_e32 v[206:207], v[182:183], v[199:200]
	s_delay_alu instid0(VALU_DEP_4)
	v_fma_f64 v[208:209], v[195:196], s[2:3], v[61:62]
	v_fma_f64 v[212:213], v[195:196], s[12:13], v[61:62]
	v_add_f64_e32 v[61:62], v[201:202], v[220:221]
	v_add_f64_e32 v[197:198], v[216:217], v[218:219]
	v_add_f64_e64 v[199:200], v[216:217], -v[218:219]
	v_fma_f64 v[210:211], v[180:181], s[12:13], v[214:215]
	v_fma_f64 v[214:215], v[180:181], s[2:3], v[214:215]
	ds_load_b128 v[180:183], v96 offset:6048
	ds_load_b128 v[193:196], v96 offset:7056
	global_wb scope:SCOPE_SE
	s_wait_storecnt_dscnt 0x0
	s_barrier_signal -1
	s_barrier_wait -1
	global_inv scope:SCOPE_SE
	ds_store_b128 v96, v[13:16]
	ds_store_b128 v96, v[21:24] offset:1152
	ds_store_b128 v96, v[25:28] offset:2304
	ds_store_b128 v0, v[17:20]
	ds_store_b128 v0, v[29:32] offset:1152
	scratch_store_b32 off, v0, off offset:664 ; 4-byte Folded Spill
	ds_store_b128 v0, v[33:36] offset:2304
	v_and_b32_e32 v0, 0xffff, v1
	s_delay_alu instid0(VALU_DEP_1)
	v_mul_u32_u24_e32 v0, 0xd8, v0
	v_fma_f64 v[61:62], v[61:62], -0.5, v[180:181]
	v_add_f64_e32 v[180:181], v[180:181], v[201:202]
	v_fma_f64 v[197:198], v[197:198], -0.5, v[182:183]
	v_add_f64_e32 v[182:183], v[182:183], v[216:217]
	v_add_lshl_u32 v0, v0, v6, 4
	ds_store_b128 v0, v[37:40]
	ds_store_b128 v0, v[45:48] offset:1152
	scratch_store_b32 off, v0, off offset:668 ; 4-byte Folded Spill
	ds_store_b128 v0, v[49:52] offset:2304
	v_and_b32_e32 v0, 0xffff, v8
	s_delay_alu instid0(VALU_DEP_1) | instskip(NEXT) | instid1(VALU_DEP_1)
	v_mul_u32_u24_e32 v0, 0xd8, v0
	v_add_lshl_u32 v0, v0, v9, 4
	ds_store_b128 v0, v[41:44]
	ds_store_b128 v0, v[53:56] offset:1152
	scratch_store_b32 off, v0, off offset:672 ; 4-byte Folded Spill
	ds_store_b128 v0, v[57:60] offset:2304
	v_mad_u16 v0, 0xd8, v7, v5
	s_delay_alu instid0(VALU_DEP_1)
	v_and_b32_e32 v0, 0xffff, v0
	v_fma_f64 v[224:225], v[199:200], s[12:13], v[61:62]
	v_add_f64_e32 v[216:217], v[180:181], v[220:221]
	v_add_f64_e64 v[180:181], v[201:202], -v[220:221]
	v_fma_f64 v[220:221], v[199:200], s[2:3], v[61:62]
	v_add_f64_e32 v[61:62], v[228:229], v[232:233]
	v_add_f64_e32 v[218:219], v[182:183], v[218:219]
	v_lshlrev_b32_e32 v0, 4, v0
	ds_store_b128 v0, v[80:83]
	ds_store_b128 v0, v[185:188] offset:1152
	scratch_store_b32 off, v0, off offset:676 ; 4-byte Folded Spill
	ds_store_b128 v0, v[189:192] offset:2304
	v_mad_u16 v0, 0xd8, v10, v12
	s_delay_alu instid0(VALU_DEP_1) | instskip(NEXT) | instid1(VALU_DEP_1)
	v_and_b32_e32 v0, 0xffff, v0
	v_lshlrev_b32_e32 v0, 4, v0
	ds_store_b128 v0, v[204:207]
	ds_store_b128 v0, v[208:211] offset:1152
	scratch_store_b32 off, v0, off offset:680 ; 4-byte Folded Spill
	ds_store_b128 v0, v[212:215] offset:2304
	v_mad_u16 v0, 0xd8, v4, v3
                                        ; implicit-def: $vgpr208_vgpr209
	s_delay_alu instid0(VALU_DEP_1)
	v_and_b32_e32 v0, 0xffff, v0
	v_fma_f64 v[222:223], v[180:181], s[12:13], v[197:198]
	v_fma_f64 v[226:227], v[180:181], s[2:3], v[197:198]
	v_add_f64_e32 v[180:181], v[230:231], v[234:235]
	v_fma_f64 v[61:62], v[61:62], -0.5, v[193:194]
	v_add_f64_e32 v[193:194], v[193:194], v[228:229]
	v_add_f64_e64 v[198:199], v[230:231], -v[234:235]
	v_lshlrev_b32_e32 v0, 4, v0
	ds_store_b128 v0, v[216:219]
	ds_store_b128 v0, v[220:223] offset:1152
	scratch_store_b32 off, v0, off offset:684 ; 4-byte Folded Spill
	ds_store_b128 v0, v[224:227] offset:2304
	v_fma_f64 v[202:203], v[180:181], -0.5, v[195:196]
	v_add_f64_e32 v[180:181], v[195:196], v[230:231]
	v_lshlrev_b32_e32 v0, 4, v2
	v_fma_f64 v[196:197], v[198:199], s[2:3], v[61:62]
	v_fma_f64 v[200:201], v[198:199], s[12:13], v[61:62]
                                        ; implicit-def: $vgpr220_vgpr221
	s_delay_alu instid0(VALU_DEP_4) | instskip(SKIP_2) | instid1(VALU_DEP_1)
	v_add_f64_e32 v[182:183], v[180:181], v[234:235]
	v_add_f64_e32 v[180:181], v[193:194], v[232:233]
	v_add_f64_e64 v[193:194], v[228:229], -v[232:233]
	v_fma_f64 v[198:199], v[193:194], s[12:13], v[202:203]
	v_fma_f64 v[202:203], v[193:194], s[2:3], v[202:203]
	ds_store_b128 v0, v[180:183] offset:20736
	ds_store_b128 v0, v[196:199] offset:21888
	scratch_store_b32 off, v0, off offset:688 ; 4-byte Folded Spill
	ds_store_b128 v0, v[200:203] offset:23040
	global_wb scope:SCOPE_SE
	s_wait_storecnt_dscnt 0x0
	s_barrier_signal -1
	s_barrier_wait -1
	global_inv scope:SCOPE_SE
	ds_load_b128 v[192:195], v96
	ds_load_b128 v[188:191], v96 offset:1008
	ds_load_b128 v[24:27], v96 offset:6912
	ds_load_b128 v[8:11], v96 offset:7920
	ds_load_b128 v[224:227], v96 offset:13824
	ds_load_b128 v[212:215], v96 offset:14832
	ds_load_b128 v[20:23], v96 offset:20736
	ds_load_b128 v[4:7], v96 offset:21744
	ds_load_b128 v[32:35], v96 offset:3456
	ds_load_b128 v[184:187], v96 offset:2016
	ds_load_b128 v[16:19], v96 offset:4464
	ds_load_b128 v[0:3], v96 offset:5472
	ds_load_b128 v[232:235], v96 offset:10368
	ds_load_b128 v[244:247], v96 offset:8928
	ds_load_b128 v[228:231], v96 offset:11376
	ds_load_b128 v[216:219], v96 offset:12384
	ds_load_b128 v[28:31], v96 offset:17280
	ds_load_b128 v[204:207], v96 offset:15840
	ds_load_b128 v[12:15], v96 offset:18288
	ds_load_b128 v[252:255], v96 offset:19296
	ds_load_b128 v[248:251], v96 offset:22752
	s_load_b64 s[2:3], s[0:1], 0x38
	v_add_co_u32 v36, s0, s8, v96
	s_wait_alu 0xf1ff
	v_add_co_ci_u32_e64 v37, null, s9, 0, s0
	s_and_saveexec_b32 s0, vcc_lo
	s_cbranch_execz .LBB0_3
; %bb.2:
	ds_load_b128 v[180:183], v96 offset:3024
	ds_load_b128 v[196:199], v96 offset:6480
	;; [unrolled: 1-line block ×7, first 2 shown]
.LBB0_3:
	s_wait_alu 0xfffe
	s_or_b32 exec_lo, exec_lo, s0
	v_mad_co_u64_u32 v[38:39], null, 0x60, v97, s[10:11]
	s_mov_b32 s14, 0x429ad128
	s_mov_b32 s16, 0x37e14327
	;; [unrolled: 1-line block ×6, first 2 shown]
	s_clause 0x1
	global_load_b128 v[42:45], v[38:39], off offset:3424
	global_load_b128 v[46:49], v[38:39], off offset:3440
	s_mov_b32 s20, 0xb247c609
	s_mov_b32 s27, 0xbfe11646
	;; [unrolled: 1-line block ×10, first 2 shown]
	s_wait_loadcnt_dscnt 0x10c
	v_mul_f64_e32 v[40:41], v[34:35], v[44:45]
	scratch_store_b128 off, v[42:45], off offset:648 ; 16-byte Folded Spill
	s_wait_loadcnt 0x0
	scratch_store_b128 off, v[46:49], off offset:756 ; 16-byte Folded Spill
	v_fma_f64 v[54:55], v[32:33], v[42:43], -v[40:41]
	v_mul_f64_e32 v[32:33], v[32:33], v[44:45]
	s_delay_alu instid0(VALU_DEP_1) | instskip(SKIP_1) | instid1(VALU_DEP_1)
	v_fma_f64 v[52:53], v[34:35], v[42:43], v[32:33]
	v_mul_f64_e32 v[32:33], v[26:27], v[48:49]
	v_fma_f64 v[58:59], v[24:25], v[46:47], -v[32:33]
	s_clause 0x1
	global_load_b128 v[32:35], v[38:39], off offset:3488
	global_load_b128 v[40:43], v[38:39], off offset:3504
	v_mul_f64_e32 v[24:25], v[24:25], v[48:49]
	s_delay_alu instid0(VALU_DEP_1)
	v_fma_f64 v[56:57], v[26:27], v[46:47], v[24:25]
	s_wait_loadcnt_dscnt 0x104
	v_mul_f64_e32 v[24:25], v[30:31], v[34:35]
	scratch_store_b128 off, v[32:35], off offset:772 ; 16-byte Folded Spill
	s_wait_loadcnt 0x0
	scratch_store_b128 off, v[40:43], off offset:788 ; 16-byte Folded Spill
	v_fma_f64 v[62:63], v[28:29], v[32:33], -v[24:25]
	v_mul_f64_e32 v[24:25], v[28:29], v[34:35]
	s_delay_alu instid0(VALU_DEP_1) | instskip(SKIP_1) | instid1(VALU_DEP_2)
	v_fma_f64 v[60:61], v[30:31], v[32:33], v[24:25]
	v_mul_f64_e32 v[24:25], v[22:23], v[42:43]
	v_add_f64_e32 v[88:89], v[56:57], v[60:61]
	s_delay_alu instid0(VALU_DEP_2) | instskip(SKIP_1) | instid1(VALU_DEP_1)
	v_fma_f64 v[82:83], v[20:21], v[40:41], -v[24:25]
	v_mul_f64_e32 v[20:21], v[20:21], v[42:43]
	v_fma_f64 v[80:81], v[22:23], v[40:41], v[20:21]
	s_clause 0x1
	global_load_b128 v[22:25], v[38:39], off offset:9472
	global_load_b128 v[28:31], v[38:39], off offset:9488
	s_wait_loadcnt 0x1
	v_mul_f64_e32 v[20:21], v[18:19], v[24:25]
	scratch_store_b128 off, v[22:25], off offset:804 ; 16-byte Folded Spill
	s_wait_loadcnt 0x0
	scratch_store_b128 off, v[28:31], off offset:820 ; 16-byte Folded Spill
	v_fma_f64 v[20:21], v[16:17], v[22:23], -v[20:21]
	v_mul_f64_e32 v[16:17], v[16:17], v[24:25]
	s_delay_alu instid0(VALU_DEP_1) | instskip(SKIP_1) | instid1(VALU_DEP_1)
	v_fma_f64 v[16:17], v[18:19], v[22:23], v[16:17]
	v_mul_f64_e32 v[18:19], v[10:11], v[30:31]
	v_fma_f64 v[26:27], v[8:9], v[28:29], -v[18:19]
	v_mul_f64_e32 v[8:9], v[8:9], v[30:31]
	s_delay_alu instid0(VALU_DEP_1)
	v_fma_f64 v[24:25], v[10:11], v[28:29], v[8:9]
	s_clause 0x1
	global_load_b128 v[28:31], v[38:39], off offset:9536
	global_load_b128 v[32:35], v[38:39], off offset:9552
	s_wait_loadcnt_dscnt 0x102
	v_mul_f64_e32 v[8:9], v[14:15], v[30:31]
	scratch_store_b128 off, v[28:31], off offset:836 ; 16-byte Folded Spill
	s_wait_loadcnt 0x0
	scratch_store_b128 off, v[32:35], off offset:852 ; 16-byte Folded Spill
	v_fma_f64 v[44:45], v[12:13], v[28:29], -v[8:9]
	v_mul_f64_e32 v[8:9], v[12:13], v[30:31]
	s_delay_alu instid0(VALU_DEP_1) | instskip(SKIP_1) | instid1(VALU_DEP_2)
	v_fma_f64 v[40:41], v[14:15], v[28:29], v[8:9]
	v_mul_f64_e32 v[8:9], v[6:7], v[34:35]
	v_add_f64_e32 v[84:85], v[24:25], v[40:41]
	s_delay_alu instid0(VALU_DEP_2) | instskip(SKIP_2) | instid1(VALU_DEP_3)
	v_fma_f64 v[50:51], v[4:5], v[32:33], -v[8:9]
	v_mul_f64_e32 v[4:5], v[4:5], v[34:35]
	v_add_f64_e64 v[24:25], v[24:25], -v[40:41]
	v_add_f64_e32 v[94:95], v[20:21], v[50:51]
	s_delay_alu instid0(VALU_DEP_3)
	v_fma_f64 v[48:49], v[6:7], v[32:33], v[4:5]
	s_clause 0x1
	global_load_b128 v[6:9], v[38:39], off offset:15520
	global_load_b128 v[28:31], v[38:39], off offset:15536
	v_add_f64_e64 v[20:21], v[20:21], -v[50:51]
	v_add_f64_e32 v[70:71], v[16:17], v[48:49]
	v_add_f64_e64 v[16:17], v[16:17], -v[48:49]
	s_wait_loadcnt 0x1
	v_mul_f64_e32 v[4:5], v[2:3], v[8:9]
	scratch_store_b128 off, v[6:9], off offset:900 ; 16-byte Folded Spill
	s_wait_loadcnt 0x0
	scratch_store_b128 off, v[28:31], off offset:916 ; 16-byte Folded Spill
	v_fma_f64 v[10:11], v[0:1], v[6:7], -v[4:5]
	v_mul_f64_e32 v[0:1], v[0:1], v[8:9]
	s_delay_alu instid0(VALU_DEP_1) | instskip(SKIP_4) | instid1(VALU_DEP_1)
	v_fma_f64 v[8:9], v[2:3], v[6:7], v[0:1]
	s_clause 0x1
	global_load_b128 v[2:5], v[38:39], off offset:15584
	global_load_b128 v[32:35], v[38:39], off offset:15600
	v_mul_f64_e32 v[0:1], v[246:247], v[30:31]
	v_fma_f64 v[14:15], v[244:245], v[28:29], -v[0:1]
	v_mul_f64_e32 v[0:1], v[244:245], v[30:31]
	s_delay_alu instid0(VALU_DEP_1)
	v_fma_f64 v[12:13], v[246:247], v[28:29], v[0:1]
	s_wait_loadcnt_dscnt 0x101
	v_mul_f64_e32 v[0:1], v[254:255], v[4:5]
	scratch_store_b128 off, v[2:5], off offset:932 ; 16-byte Folded Spill
	s_wait_loadcnt 0x0
	scratch_store_b128 off, v[32:35], off offset:948 ; 16-byte Folded Spill
	v_fma_f64 v[22:23], v[252:253], v[2:3], -v[0:1]
	v_mul_f64_e32 v[0:1], v[252:253], v[4:5]
	s_delay_alu instid0(VALU_DEP_2) | instskip(NEXT) | instid1(VALU_DEP_2)
	v_add_f64_e32 v[74:75], v[14:15], v[22:23]
	v_fma_f64 v[18:19], v[254:255], v[2:3], v[0:1]
	s_wait_dscnt 0x0
	v_mul_f64_e32 v[0:1], v[250:251], v[34:35]
	v_add_f64_e64 v[14:15], v[14:15], -v[22:23]
	s_delay_alu instid0(VALU_DEP_3) | instskip(NEXT) | instid1(VALU_DEP_3)
	v_add_f64_e32 v[106:107], v[12:13], v[18:19]
	v_fma_f64 v[30:31], v[248:249], v[32:33], -v[0:1]
	v_mul_f64_e32 v[0:1], v[248:249], v[34:35]
	s_delay_alu instid0(VALU_DEP_1)
	v_fma_f64 v[28:29], v[250:251], v[32:33], v[0:1]
	s_clause 0x1
	global_load_b128 v[2:5], v[38:39], off offset:3456
	global_load_b128 v[32:35], v[38:39], off offset:3472
	v_add_f64_e32 v[104:105], v[8:9], v[28:29]
	v_add_f64_e64 v[22:23], v[8:9], -v[28:29]
	s_wait_loadcnt 0x1
	v_mul_f64_e32 v[0:1], v[234:235], v[4:5]
	scratch_store_b128 off, v[2:5], off offset:964 ; 16-byte Folded Spill
	s_wait_loadcnt 0x0
	scratch_store_b128 off, v[32:35], off offset:980 ; 16-byte Folded Spill
	v_fma_f64 v[246:247], v[232:233], v[2:3], -v[0:1]
	v_mul_f64_e32 v[0:1], v[232:233], v[4:5]
	s_delay_alu instid0(VALU_DEP_1) | instskip(SKIP_1) | instid1(VALU_DEP_1)
	v_fma_f64 v[244:245], v[234:235], v[2:3], v[0:1]
	v_mul_f64_e32 v[0:1], v[226:227], v[34:35]
	v_fma_f64 v[248:249], v[224:225], v[32:33], -v[0:1]
	v_mul_f64_e32 v[0:1], v[224:225], v[34:35]
	s_delay_alu instid0(VALU_DEP_1)
	v_fma_f64 v[224:225], v[226:227], v[32:33], v[0:1]
	s_clause 0x1
	global_load_b128 v[2:5], v[38:39], off offset:9504
	global_load_b128 v[32:35], v[38:39], off offset:9520
	v_add_f64_e32 v[90:91], v[244:245], v[224:225]
	s_wait_loadcnt 0x1
	v_mul_f64_e32 v[0:1], v[230:231], v[4:5]
	scratch_store_b128 off, v[2:5], off offset:868 ; 16-byte Folded Spill
	s_wait_loadcnt 0x0
	scratch_store_b128 off, v[32:35], off offset:884 ; 16-byte Folded Spill
	v_fma_f64 v[232:233], v[228:229], v[2:3], -v[0:1]
	v_mul_f64_e32 v[0:1], v[228:229], v[4:5]
	s_delay_alu instid0(VALU_DEP_1) | instskip(SKIP_1) | instid1(VALU_DEP_1)
	v_fma_f64 v[228:229], v[230:231], v[2:3], v[0:1]
	v_mul_f64_e32 v[0:1], v[214:215], v[34:35]
	v_fma_f64 v[234:235], v[212:213], v[32:33], -v[0:1]
	v_mul_f64_e32 v[0:1], v[212:213], v[34:35]
	s_delay_alu instid0(VALU_DEP_1)
	v_fma_f64 v[230:231], v[214:215], v[32:33], v[0:1]
	s_clause 0x1
	global_load_b128 v[32:35], v[38:39], off offset:15552
	global_load_b128 v[2:5], v[38:39], off offset:15568
	v_add_f64_e32 v[86:87], v[228:229], v[230:231]
	v_add_f64_e64 v[40:41], v[230:231], -v[228:229]
	s_wait_loadcnt 0x1
	v_mul_f64_e32 v[0:1], v[218:219], v[34:35]
	scratch_store_b128 off, v[32:35], off offset:728 ; 16-byte Folded Spill
	s_wait_loadcnt 0x0
	scratch_store_b128 off, v[2:5], off offset:712 ; 16-byte Folded Spill
	v_fma_f64 v[214:215], v[216:217], v[32:33], -v[0:1]
	v_mul_f64_e32 v[0:1], v[216:217], v[34:35]
	s_delay_alu instid0(VALU_DEP_1) | instskip(SKIP_1) | instid1(VALU_DEP_1)
	v_fma_f64 v[212:213], v[218:219], v[32:33], v[0:1]
	v_mul_f64_e32 v[0:1], v[206:207], v[4:5]
	v_fma_f64 v[218:219], v[204:205], v[2:3], -v[0:1]
	v_mul_f64_e32 v[0:1], v[204:205], v[4:5]
	s_delay_alu instid0(VALU_DEP_2) | instskip(NEXT) | instid1(VALU_DEP_2)
	v_add_f64_e32 v[100:101], v[214:215], v[218:219]
	v_fma_f64 v[216:217], v[206:207], v[2:3], v[0:1]
	v_subrev_nc_u32_e32 v0, 27, v97
	s_delay_alu instid0(VALU_DEP_1) | instskip(SKIP_2) | instid1(VALU_DEP_3)
	v_cndmask_b32_e32 v0, v0, v99, vcc_lo
	v_add_f64_e32 v[98:99], v[52:53], v[80:81]
	v_add_f64_e64 v[80:81], v[52:53], -v[80:81]
	v_mul_i32_i24_e32 v1, 0x60, v0
	v_mul_hi_i32_i24_e32 v2, 0x60, v0
	s_delay_alu instid0(VALU_DEP_2) | instskip(SKIP_1) | instid1(VALU_DEP_2)
	v_add_co_u32 v0, s0, s10, v1
	s_wait_alu 0xf1ff
	v_add_co_ci_u32_e64 v1, s0, s11, v2, s0
	s_clause 0x1
	global_load_b128 v[4:7], v[0:1], off offset:3424
	global_load_b128 v[64:67], v[0:1], off offset:3440
	s_mov_b32 s0, 0xaaaaaaaa
	s_mov_b32 s1, 0xbff2aaaa
	;; [unrolled: 1-line block ×4, first 2 shown]
	v_add_f64_e32 v[108:109], v[212:213], v[216:217]
	s_wait_loadcnt 0x1
	v_mul_f64_e32 v[2:3], v[198:199], v[6:7]
	scratch_store_b128 off, v[4:7], off offset:1664 ; 16-byte Folded Spill
	s_wait_loadcnt 0x0
	scratch_store_b128 off, v[64:67], off offset:1680 ; 16-byte Folded Spill
	v_fma_f64 v[34:35], v[196:197], v[4:5], -v[2:3]
	v_mul_f64_e32 v[2:3], v[196:197], v[6:7]
	s_delay_alu instid0(VALU_DEP_1) | instskip(SKIP_1) | instid1(VALU_DEP_1)
	v_fma_f64 v[32:33], v[198:199], v[4:5], v[2:3]
	v_mul_f64_e32 v[2:3], v[202:203], v[66:67]
	v_fma_f64 v[42:43], v[200:201], v[64:65], -v[2:3]
	v_mul_f64_e32 v[2:3], v[200:201], v[66:67]
	s_delay_alu instid0(VALU_DEP_1)
	v_fma_f64 v[38:39], v[202:203], v[64:65], v[2:3]
	s_clause 0x1
	global_load_b128 v[4:7], v[0:1], off offset:3504
	global_load_b128 v[64:67], v[0:1], off offset:3488
	s_wait_loadcnt 0x1
	v_mul_f64_e32 v[2:3], v[242:243], v[6:7]
	scratch_store_b128 off, v[4:7], off offset:1696 ; 16-byte Folded Spill
	s_wait_loadcnt 0x0
	scratch_store_b128 off, v[64:67], off offset:1712 ; 16-byte Folded Spill
	v_fma_f64 v[196:197], v[240:241], v[4:5], -v[2:3]
	v_mul_f64_e32 v[2:3], v[240:241], v[6:7]
	s_delay_alu instid0(VALU_DEP_1) | instskip(SKIP_2) | instid1(VALU_DEP_2)
	v_fma_f64 v[46:47], v[242:243], v[4:5], v[2:3]
	v_mul_f64_e32 v[2:3], v[238:239], v[66:67]
	v_add_f64_e32 v[242:243], v[246:247], v[248:249]
	v_fma_f64 v[200:201], v[236:237], v[64:65], -v[2:3]
	v_mul_f64_e32 v[2:3], v[236:237], v[66:67]
	v_add_f64_e32 v[236:237], v[10:11], v[30:31]
	s_delay_alu instid0(VALU_DEP_2)
	v_fma_f64 v[198:199], v[238:239], v[64:65], v[2:3]
	s_clause 0x1
	global_load_b128 v[2:5], v[0:1], off offset:3456
	global_load_b128 v[64:67], v[0:1], off offset:3472
	v_add_f64_e64 v[28:29], v[74:75], -v[236:237]
	v_add_f64_e32 v[226:227], v[38:39], v[198:199]
	v_add_f64_e64 v[38:39], v[38:39], -v[198:199]
	s_wait_loadcnt 0x1
	v_mul_f64_e32 v[0:1], v[210:211], v[4:5]
	scratch_store_b128 off, v[2:5], off offset:1728 ; 16-byte Folded Spill
	s_wait_loadcnt 0x0
	scratch_store_b128 off, v[64:67], off offset:1744 ; 16-byte Folded Spill
	v_fma_f64 v[204:205], v[208:209], v[2:3], -v[0:1]
	v_mul_f64_e32 v[0:1], v[208:209], v[4:5]
	s_delay_alu instid0(VALU_DEP_1)
	v_fma_f64 v[202:203], v[210:211], v[2:3], v[0:1]
	v_mul_f64_e32 v[0:1], v[222:223], v[66:67]
	v_add_f64_e32 v[210:211], v[54:55], v[82:83]
	v_add_f64_e64 v[82:83], v[54:55], -v[82:83]
	v_add_f64_e64 v[54:55], v[56:57], -v[60:61]
	;; [unrolled: 1-line block ×4, first 2 shown]
	v_fma_f64 v[208:209], v[220:221], v[64:65], -v[0:1]
	v_mul_f64_e32 v[0:1], v[220:221], v[66:67]
	v_add_f64_e32 v[220:221], v[58:59], v[62:63]
	v_add_f64_e32 v[66:67], v[232:233], v[234:235]
	v_add_f64_e64 v[58:59], v[58:59], -v[62:63]
	v_add_f64_e64 v[62:63], v[248:249], -v[246:247]
	;; [unrolled: 1-line block ×3, first 2 shown]
	v_fma_f64 v[206:207], v[222:223], v[64:65], v[0:1]
	v_add_f64_e32 v[0:1], v[220:221], v[210:211]
	v_add_f64_e32 v[64:65], v[26:27], v[44:45]
	;; [unrolled: 1-line block ×4, first 2 shown]
	v_add_f64_e64 v[56:57], v[62:63], -v[58:59]
	v_add_f64_e64 v[26:27], v[26:27], -v[44:45]
	;; [unrolled: 1-line block ×3, first 2 shown]
	v_add_f64_e32 v[254:255], v[242:243], v[0:1]
	v_add_f64_e32 v[0:1], v[88:89], v[98:99]
	v_add_f64_e64 v[88:89], v[90:91], -v[88:89]
	v_add_f64_e32 v[246:247], v[52:53], v[82:83]
	v_add_f64_e32 v[48:49], v[44:45], v[26:27]
	v_add_f64_e64 v[50:51], v[44:45], -v[26:27]
	v_add_f64_e32 v[238:239], v[192:193], v[254:255]
	v_add_f64_e32 v[92:93], v[90:91], v[0:1]
	;; [unrolled: 1-line block ×3, first 2 shown]
	v_add_f64_e64 v[90:91], v[98:99], -v[90:91]
	v_add_f64_e64 v[98:99], v[82:83], -v[62:63]
	s_wait_alu 0xfffe
	v_mul_f64_e32 v[62:63], s[14:15], v[244:245]
	v_add_f64_e32 v[240:241], v[194:195], v[92:93]
	v_add_f64_e32 v[68:69], v[66:67], v[0:1]
	;; [unrolled: 1-line block ×3, first 2 shown]
	v_mul_f64_e32 v[90:91], s[16:17], v[90:91]
	s_wait_alu 0xf1ff
	s_delay_alu instid0(VALU_DEP_4) | instskip(NEXT) | instid1(VALU_DEP_4)
	v_fma_f64 v[92:93], v[92:93], s[0:1], v[240:241]
	v_add_f64_e32 v[250:251], v[188:189], v[68:69]
	s_delay_alu instid0(VALU_DEP_4)
	v_add_f64_e32 v[72:73], v[86:87], v[0:1]
	v_add_f64_e32 v[0:1], v[74:75], v[236:237]
	;; [unrolled: 1-line block ×3, first 2 shown]
	v_add_f64_e64 v[32:33], v[32:33], -v[46:47]
	v_fma_f64 v[68:69], v[68:69], s[0:1], v[250:251]
	v_add_f64_e32 v[252:253], v[190:191], v[72:73]
	v_add_f64_e32 v[102:103], v[100:101], v[0:1]
	;; [unrolled: 1-line block ×4, first 2 shown]
	ds_store_b128 v96, v[238:241]
	v_add_f64_e64 v[240:241], v[60:61], -v[54:55]
	ds_store_b128 v96, v[250:253] offset:1008
	v_add_f64_e32 v[4:5], v[184:185], v[102:103]
	v_add_f64_e32 v[110:111], v[108:109], v[0:1]
	;; [unrolled: 1-line block ×3, first 2 shown]
	v_mul_f64_e32 v[250:251], s[26:27], v[56:57]
	v_mul_f64_e32 v[240:241], s[26:27], v[240:241]
	v_fma_f64 v[72:73], v[72:73], s[0:1], v[252:253]
	v_add_f64_e64 v[34:35], v[34:35], -v[196:197]
	v_add_f64_e32 v[6:7], v[186:187], v[110:111]
	v_add_f64_e32 v[186:187], v[204:205], v[208:209]
	;; [unrolled: 1-line block ×3, first 2 shown]
	v_add_f64_e64 v[46:47], v[222:223], -v[184:185]
	s_delay_alu instid0(VALU_DEP_2) | instskip(SKIP_1) | instid1(VALU_DEP_1)
	v_add_f64_e32 v[192:193], v[186:187], v[0:1]
	v_add_f64_e32 v[0:1], v[226:227], v[188:189]
	;; [unrolled: 1-line block ×3, first 2 shown]
	s_delay_alu instid0(VALU_DEP_3)
	v_add_f64_e32 v[0:1], v[180:181], v[192:193]
	v_fma_f64 v[180:181], v[254:255], s[0:1], v[238:239]
	v_add_f64_e64 v[238:239], v[58:59], -v[82:83]
	v_add_f64_e32 v[58:59], v[60:61], v[54:55]
	v_fma_f64 v[82:83], v[224:225], s[18:19], -v[90:91]
	v_mul_f64_e32 v[54:55], s[10:11], v[88:89]
	v_fma_f64 v[88:89], v[88:89], s[10:11], v[90:91]
	v_add_f64_e32 v[2:3], v[182:183], v[194:195]
	v_add_f64_e64 v[182:183], v[220:221], -v[210:211]
	v_add_f64_e64 v[220:221], v[242:243], -v[220:221]
	;; [unrolled: 1-line block ×4, first 2 shown]
	v_mul_f64_e32 v[60:61], s[14:15], v[238:239]
	v_add_f64_e32 v[248:249], v[58:59], v[80:81]
	v_add_f64_e32 v[82:83], v[82:83], v[92:93]
	v_fma_f64 v[54:55], v[224:225], s[24:25], -v[54:55]
	v_fma_f64 v[56:57], v[238:239], s[14:15], -v[250:251]
	v_add_f64_e32 v[88:89], v[88:89], v[92:93]
	v_mul_f64_e32 v[52:53], s[10:11], v[220:221]
	v_mul_f64_e32 v[210:211], s[16:17], v[210:211]
	v_fma_f64 v[62:63], v[242:243], s[22:23], -v[62:63]
	v_fma_f64 v[60:61], v[98:99], s[22:23], -v[60:61]
	v_fma_f64 v[98:99], v[98:99], s[20:21], v[250:251]
	v_add_f64_e32 v[254:255], v[54:55], v[92:93]
	v_fma_f64 v[58:59], v[246:247], s[12:13], v[56:57]
	v_fma_f64 v[56:57], v[244:245], s[14:15], -v[240:241]
	v_add_f64_e64 v[92:93], v[26:27], -v[20:21]
	v_add_f64_e32 v[26:27], v[40:41], v[24:25]
	v_fma_f64 v[52:53], v[182:183], s[24:25], -v[52:53]
	v_fma_f64 v[80:81], v[182:183], s[18:19], -v[210:211]
	v_fma_f64 v[224:225], v[248:249], s[12:13], v[62:63]
	v_fma_f64 v[182:183], v[246:247], s[12:13], v[60:61]
	;; [unrolled: 1-line block ×4, first 2 shown]
	v_add_f64_e32 v[220:221], v[48:49], v[20:21]
	v_add_f64_e64 v[20:21], v[20:21], -v[44:45]
	v_fma_f64 v[56:57], v[248:249], s[12:13], v[56:57]
	v_add_f64_e32 v[54:55], v[58:59], v[254:255]
	v_add_f64_e64 v[58:59], v[254:255], -v[58:59]
	v_add_f64_e32 v[252:253], v[52:53], v[180:181]
	v_add_f64_e32 v[80:81], v[80:81], v[180:181]
	v_add_f64_e64 v[62:63], v[82:83], -v[182:183]
	v_add_f64_e32 v[82:83], v[182:183], v[82:83]
	v_fma_f64 v[182:183], v[242:243], s[20:21], v[240:241]
	v_add_f64_e32 v[210:211], v[210:211], v[180:181]
	v_add_f64_e32 v[240:241], v[90:91], v[88:89]
	v_mul_f64_e32 v[242:243], s[26:27], v[50:51]
	v_add_f64_e64 v[52:53], v[252:253], -v[56:57]
	v_add_f64_e32 v[60:61], v[224:225], v[80:81]
	v_add_f64_e64 v[80:81], v[80:81], -v[224:225]
	v_add_f64_e32 v[224:225], v[26:27], v[16:17]
	v_add_f64_e32 v[56:57], v[56:57], v[252:253]
	v_fma_f64 v[98:99], v[248:249], s[12:13], v[182:183]
	v_add_f64_e64 v[182:183], v[88:89], -v[90:91]
	v_add_f64_e64 v[88:89], v[64:65], -v[94:95]
	;; [unrolled: 1-line block ×7, first 2 shown]
	v_fma_f64 v[48:49], v[92:93], s[14:15], -v[242:243]
	v_add_f64_e32 v[180:181], v[98:99], v[210:211]
	v_add_f64_e64 v[238:239], v[210:211], -v[98:99]
	v_add_f64_e64 v[98:99], v[40:41], -v[24:25]
	;; [unrolled: 1-line block ×3, first 2 shown]
	v_mul_f64_e32 v[24:25], s[10:11], v[64:65]
	v_mul_f64_e32 v[26:27], s[10:11], v[84:85]
	v_add_f64_e64 v[16:17], v[16:17], -v[40:41]
	v_mul_f64_e32 v[40:41], s[14:15], v[92:93]
	v_mul_f64_e32 v[66:67], s[16:17], v[66:67]
	;; [unrolled: 1-line block ×3, first 2 shown]
	v_fma_f64 v[50:51], v[220:221], s[12:13], v[48:49]
	v_mul_f64_e32 v[98:99], s[26:27], v[98:99]
	v_mul_f64_e32 v[44:45], s[14:15], v[210:211]
	v_fma_f64 v[24:25], v[88:89], s[24:25], -v[24:25]
	v_fma_f64 v[26:27], v[90:91], s[24:25], -v[26:27]
	;; [unrolled: 1-line block ×5, first 2 shown]
	v_fma_f64 v[20:21], v[20:21], s[20:21], v[242:243]
	v_fma_f64 v[48:49], v[210:211], s[14:15], -v[98:99]
	v_fma_f64 v[44:45], v[16:17], s[22:23], -v[44:45]
	v_add_f64_e32 v[228:229], v[24:25], v[68:69]
	v_add_f64_e32 v[230:231], v[26:27], v[72:73]
	v_fma_f64 v[16:17], v[16:17], s[20:21], v[98:99]
	v_fma_f64 v[40:41], v[220:221], s[12:13], v[40:41]
	v_add_f64_e32 v[86:87], v[86:87], v[68:69]
	v_add_f64_e32 v[88:89], v[88:89], v[72:73]
	v_fma_f64 v[20:21], v[220:221], s[12:13], v[20:21]
	v_fma_f64 v[48:49], v[224:225], s[12:13], v[48:49]
	;; [unrolled: 1-line block ×3, first 2 shown]
	v_add_f64_e32 v[26:27], v[50:51], v[230:231]
	v_add_f64_e64 v[50:51], v[230:231], -v[50:51]
	v_fma_f64 v[16:17], v[224:225], s[12:13], v[16:17]
	v_add_f64_e64 v[230:231], v[88:89], -v[40:41]
	v_add_f64_e32 v[234:235], v[40:41], v[88:89]
	v_fma_f64 v[40:41], v[64:65], s[10:11], v[66:67]
	v_add_f64_e64 v[24:25], v[228:229], -v[48:49]
	v_add_f64_e32 v[48:49], v[48:49], v[228:229]
	v_add_f64_e32 v[228:229], v[44:45], v[86:87]
	v_add_f64_e64 v[232:233], v[86:87], -v[44:45]
	v_fma_f64 v[44:45], v[84:85], s[10:11], v[70:71]
	v_fma_f64 v[84:85], v[102:103], s[0:1], v[4:5]
	;; [unrolled: 1-line block ×3, first 2 shown]
	v_add_f64_e32 v[40:41], v[40:41], v[68:69]
	s_delay_alu instid0(VALU_DEP_4) | instskip(NEXT) | instid1(VALU_DEP_2)
	v_add_f64_e32 v[44:45], v[44:45], v[72:73]
	v_add_f64_e32 v[242:243], v[16:17], v[40:41]
	v_add_f64_e64 v[246:247], v[40:41], -v[16:17]
	v_add_f64_e64 v[16:17], v[218:219], -v[214:215]
	;; [unrolled: 1-line block ×4, first 2 shown]
	v_add_f64_e32 v[248:249], v[20:21], v[44:45]
	v_add_f64_e64 v[20:21], v[10:11], -v[30:31]
	v_add_f64_e64 v[10:11], v[12:13], -v[18:19]
	;; [unrolled: 1-line block ×6, first 2 shown]
	v_add_f64_e32 v[8:9], v[16:17], v[14:15]
	v_add_f64_e64 v[64:65], v[14:15], -v[20:21]
	v_add_f64_e64 v[68:69], v[10:11], -v[22:23]
	;; [unrolled: 1-line block ×3, first 2 shown]
	v_add_f64_e32 v[14:15], v[18:19], v[10:11]
	v_mul_f64_e32 v[10:11], s[10:11], v[44:45]
	v_mul_f64_e32 v[74:75], s[26:27], v[12:13]
	v_add_f64_e32 v[70:71], v[8:9], v[20:21]
	v_mul_f64_e32 v[8:9], s[10:11], v[30:31]
	v_add_f64_e64 v[92:93], v[20:21], -v[16:17]
	v_add_f64_e64 v[94:95], v[22:23], -v[18:19]
	v_mul_f64_e32 v[16:17], s[14:15], v[64:65]
	v_mul_f64_e32 v[18:19], s[14:15], v[68:69]
	;; [unrolled: 1-line block ×3, first 2 shown]
	v_add_f64_e32 v[72:73], v[14:15], v[22:23]
	v_fma_f64 v[10:11], v[40:41], s[24:25], -v[10:11]
	v_fma_f64 v[12:13], v[64:65], s[14:15], -v[74:75]
	v_fma_f64 v[8:9], v[28:29], s[24:25], -v[8:9]
	v_fma_f64 v[16:17], v[92:93], s[22:23], -v[16:17]
	v_fma_f64 v[18:19], v[94:95], s[22:23], -v[18:19]
	v_add_f64_e32 v[90:91], v[10:11], v[86:87]
	v_fma_f64 v[14:15], v[70:71], s[12:13], v[12:13]
	v_fma_f64 v[12:13], v[68:69], s[14:15], -v[66:67]
	v_add_f64_e32 v[88:89], v[8:9], v[84:85]
	s_delay_alu instid0(VALU_DEP_3) | instskip(NEXT) | instid1(VALU_DEP_3)
	v_add_f64_e32 v[10:11], v[14:15], v[90:91]
	v_fma_f64 v[12:13], v[72:73], s[12:13], v[12:13]
	v_add_f64_e64 v[14:15], v[90:91], -v[14:15]
	v_add_f64_e64 v[90:91], v[104:105], -v[108:109]
	s_delay_alu instid0(VALU_DEP_3) | instskip(SKIP_2) | instid1(VALU_DEP_4)
	v_add_f64_e64 v[8:9], v[88:89], -v[12:13]
	v_add_f64_e32 v[12:13], v[12:13], v[88:89]
	v_add_f64_e64 v[88:89], v[236:237], -v[100:101]
	v_mul_f64_e32 v[68:69], s[16:17], v[90:91]
	v_fma_f64 v[90:91], v[192:193], s[0:1], v[0:1]
	s_delay_alu instid0(VALU_DEP_3) | instskip(NEXT) | instid1(VALU_DEP_3)
	v_mul_f64_e32 v[64:65], s[16:17], v[88:89]
	v_fma_f64 v[22:23], v[40:41], s[18:19], -v[68:69]
	v_fma_f64 v[40:41], v[72:73], s[12:13], v[18:19]
	v_fma_f64 v[44:45], v[44:45], s[10:11], v[68:69]
	v_add_f64_e64 v[68:69], v[190:191], -v[226:227]
	v_fma_f64 v[20:21], v[28:29], s[18:19], -v[64:65]
	v_fma_f64 v[28:29], v[70:71], s[12:13], v[16:17]
	v_add_f64_e32 v[22:23], v[22:23], v[86:87]
	v_fma_f64 v[30:31], v[30:31], s[10:11], v[64:65]
	v_add_f64_e32 v[44:45], v[44:45], v[86:87]
	v_mul_f64_e32 v[88:89], s[10:11], v[68:69]
	v_add_f64_e32 v[20:21], v[20:21], v[84:85]
	v_add_f64_e64 v[18:19], v[22:23], -v[28:29]
	v_add_f64_e32 v[22:23], v[28:29], v[22:23]
	v_fma_f64 v[28:29], v[92:93], s[20:21], v[74:75]
	v_fma_f64 v[92:93], v[194:195], s[0:1], v[2:3]
	v_add_f64_e32 v[16:17], v[40:41], v[20:21]
	v_add_f64_e64 v[20:21], v[20:21], -v[40:41]
	v_fma_f64 v[40:41], v[94:95], s[20:21], v[66:67]
	v_add_f64_e32 v[66:67], v[30:31], v[84:85]
	v_fma_f64 v[64:65], v[70:71], s[12:13], v[28:29]
	s_delay_alu instid0(VALU_DEP_3) | instskip(NEXT) | instid1(VALU_DEP_2)
	v_fma_f64 v[40:41], v[72:73], s[12:13], v[40:41]
	v_add_f64_e64 v[30:31], v[44:45], -v[64:65]
	v_add_f64_e32 v[212:213], v[64:65], v[44:45]
	v_add_f64_e64 v[44:45], v[206:207], -v[202:203]
	v_add_f64_e64 v[64:65], v[186:187], -v[222:223]
	v_add_f64_e32 v[28:29], v[40:41], v[66:67]
	v_add_f64_e64 v[210:211], v[66:67], -v[40:41]
	v_add_f64_e64 v[40:41], v[42:43], -v[200:201]
	;; [unrolled: 1-line block ×3, first 2 shown]
	ds_store_b128 v96, v[60:63] offset:6912
	ds_store_b128 v96, v[228:231] offset:7920
	;; [unrolled: 1-line block ×17, first 2 shown]
	v_add_f64_e64 v[4:5], v[184:185], -v[186:187]
	v_add_f64_e64 v[84:85], v[44:45], -v[38:39]
	v_add_f64_e32 v[74:75], v[44:45], v[38:39]
	v_add_f64_e64 v[38:39], v[38:39], -v[32:33]
	v_add_f64_e64 v[6:7], v[188:189], -v[190:191]
	;; [unrolled: 1-line block ×3, first 2 shown]
	v_mul_f64_e32 v[86:87], s[10:11], v[64:65]
	v_add_f64_e64 v[10:11], v[32:33], -v[44:45]
	ds_store_b128 v96, v[20:23] offset:19296
	ds_store_b128 v96, v[210:213] offset:22752
	v_add_f64_e32 v[70:71], v[42:43], v[40:41]
	v_add_f64_e64 v[72:73], v[42:43], -v[40:41]
	v_add_f64_e64 v[40:41], v[40:41], -v[34:35]
	v_add_f64_e64 v[8:9], v[34:35], -v[42:43]
	v_mul_f64_e32 v[4:5], s[16:17], v[4:5]
	v_mul_f64_e32 v[84:85], s[26:27], v[84:85]
	v_add_f64_e32 v[74:75], v[74:75], v[32:33]
	v_mul_f64_e32 v[6:7], s[16:17], v[6:7]
	v_fma_f64 v[88:89], v[66:67], s[24:25], -v[88:89]
	v_fma_f64 v[86:87], v[46:47], s[24:25], -v[86:87]
	v_add_f64_e32 v[70:71], v[70:71], v[34:35]
	v_mul_f64_e32 v[72:73], s[26:27], v[72:73]
	v_fma_f64 v[14:15], v[64:65], s[10:11], v[4:5]
	v_fma_f64 v[16:17], v[46:47], s[18:19], -v[4:5]
	v_mul_f64_e32 v[4:5], s[14:15], v[40:41]
	v_fma_f64 v[98:99], v[38:39], s[14:15], -v[84:85]
	v_fma_f64 v[18:19], v[10:11], s[20:21], v[84:85]
	v_fma_f64 v[20:21], v[66:67], s[18:19], -v[6:7]
	v_fma_f64 v[22:23], v[68:69], s[10:11], v[6:7]
	v_add_f64_e32 v[88:89], v[88:89], v[92:93]
	v_add_f64_e32 v[86:87], v[86:87], v[90:91]
	v_fma_f64 v[12:13], v[8:9], s[20:21], v[72:73]
	v_fma_f64 v[94:95], v[40:41], s[14:15], -v[72:73]
	v_add_f64_e32 v[14:15], v[14:15], v[90:91]
	v_fma_f64 v[4:5], v[8:9], s[22:23], -v[4:5]
	v_mul_f64_e32 v[8:9], s[14:15], v[38:39]
	v_fma_f64 v[98:99], v[74:75], s[12:13], v[98:99]
	v_fma_f64 v[12:13], v[70:71], s[12:13], v[12:13]
	;; [unrolled: 1-line block ×4, first 2 shown]
	v_fma_f64 v[10:11], v[10:11], s[22:23], -v[8:9]
	v_fma_f64 v[8:9], v[74:75], s[12:13], v[18:19]
	v_add_f64_e32 v[18:19], v[22:23], v[92:93]
	v_add_f64_e64 v[250:251], v[86:87], -v[98:99]
	v_add_f64_e32 v[86:87], v[98:99], v[86:87]
	v_add_f64_e32 v[252:253], v[94:95], v[88:89]
	v_add_f64_e64 v[88:89], v[88:89], -v[94:95]
	v_fma_f64 v[6:7], v[74:75], s[12:13], v[10:11]
	v_add_f64_e32 v[10:11], v[16:17], v[90:91]
	v_add_f64_e32 v[16:17], v[20:21], v[92:93]
	v_add_f64_e64 v[240:241], v[14:15], -v[8:9]
	v_add_f64_e32 v[242:243], v[12:13], v[18:19]
	v_dual_mov_b32 v235, v89 :: v_dual_mov_b32 v234, v88
	v_dual_mov_b32 v233, v87 :: v_dual_mov_b32 v232, v86
	v_add_f64_e64 v[236:237], v[10:11], -v[6:7]
	v_add_f64_e32 v[238:239], v[4:5], v[16:17]
	s_and_saveexec_b32 s0, vcc_lo
	s_cbranch_execz .LBB0_5
; %bb.4:
	v_add_f64_e64 v[20:21], v[18:19], -v[12:13]
	v_add_f64_e32 v[18:19], v[8:9], v[14:15]
	v_add_f64_e64 v[8:9], v[16:17], -v[4:5]
	v_add_f64_e32 v[6:7], v[6:7], v[10:11]
	ds_store_b128 v96, v[232:235] offset:16848
	ds_store_b128 v96, v[236:239] offset:20304
	;; [unrolled: 1-line block ×7, first 2 shown]
.LBB0_5:
	s_wait_alu 0xfffe
	s_or_b32 exec_lo, exec_lo, s0
	global_wb scope:SCOPE_SE
	s_wait_storecnt_dscnt 0x0
	s_wait_kmcnt 0x0
	s_barrier_signal -1
	s_barrier_wait -1
	global_inv scope:SCOPE_SE
	global_load_b128 v[0:3], v[36:37], off offset:24192
	ds_load_b128 v[4:7], v96
	ds_load_b128 v[8:11], v96 offset:1008
	v_lshlrev_b32_e32 v64, 4, v97
	s_add_nc_u64 s[0:1], s[8:9], 0x5e80
	s_mov_b32 s9, 0x3febb67a
	s_wait_loadcnt_dscnt 0x1
	v_mul_f64_e32 v[12:13], v[6:7], v[2:3]
	v_mul_f64_e32 v[14:15], v[4:5], v[2:3]
	s_delay_alu instid0(VALU_DEP_2) | instskip(NEXT) | instid1(VALU_DEP_2)
	v_fma_f64 v[2:3], v[4:5], v[0:1], -v[12:13]
	v_fma_f64 v[4:5], v[6:7], v[0:1], v[14:15]
	global_load_b128 v[12:15], v64, s[0:1] offset:12096
	ds_load_b128 v[16:19], v96 offset:12096
	ds_load_b128 v[20:23], v96 offset:13104
	s_clause 0x2
	global_load_b128 v[24:27], v64, s[0:1] offset:11088
	global_load_b128 v[28:31], v64, s[0:1] offset:1008
	;; [unrolled: 1-line block ×3, first 2 shown]
	s_wait_loadcnt_dscnt 0x301
	v_mul_f64_e32 v[0:1], v[18:19], v[14:15]
	v_mul_f64_e32 v[6:7], v[16:17], v[14:15]
	s_delay_alu instid0(VALU_DEP_2) | instskip(NEXT) | instid1(VALU_DEP_2)
	v_fma_f64 v[14:15], v[16:17], v[12:13], -v[0:1]
	v_fma_f64 v[16:17], v[18:19], v[12:13], v[6:7]
	s_wait_loadcnt 0x1
	v_mul_f64_e32 v[0:1], v[10:11], v[30:31]
	v_mul_f64_e32 v[12:13], v[8:9], v[30:31]
	s_delay_alu instid0(VALU_DEP_2) | instskip(NEXT) | instid1(VALU_DEP_2)
	v_fma_f64 v[6:7], v[8:9], v[28:29], -v[0:1]
	v_fma_f64 v[8:9], v[10:11], v[28:29], v[12:13]
	s_clause 0x1
	global_load_b128 v[10:13], v64, s[0:1] offset:13104
	global_load_b128 v[28:31], v64, s[0:1] offset:14112
	s_wait_loadcnt_dscnt 0x100
	v_mul_f64_e32 v[0:1], v[22:23], v[12:13]
	v_mul_f64_e32 v[12:13], v[20:21], v[12:13]
	s_delay_alu instid0(VALU_DEP_2) | instskip(NEXT) | instid1(VALU_DEP_2)
	v_fma_f64 v[18:19], v[20:21], v[10:11], -v[0:1]
	v_fma_f64 v[20:21], v[22:23], v[10:11], v[12:13]
	ds_load_b128 v[10:13], v96 offset:2016
	ds_load_b128 v[36:39], v96 offset:3024
	s_wait_dscnt 0x1
	v_mul_f64_e32 v[0:1], v[12:13], v[34:35]
	v_mul_f64_e32 v[22:23], v[10:11], v[34:35]
	s_delay_alu instid0(VALU_DEP_2) | instskip(NEXT) | instid1(VALU_DEP_2)
	v_fma_f64 v[10:11], v[10:11], v[32:33], -v[0:1]
	v_fma_f64 v[12:13], v[12:13], v[32:33], v[22:23]
	ds_load_b128 v[32:35], v96 offset:14112
	ds_load_b128 v[40:43], v96 offset:15120
	s_clause 0x1
	global_load_b128 v[44:47], v64, s[0:1] offset:3024
	global_load_b128 v[48:51], v64, s[0:1] offset:4032
	s_wait_loadcnt_dscnt 0x201
	v_mul_f64_e32 v[0:1], v[34:35], v[30:31]
	v_mul_f64_e32 v[22:23], v[32:33], v[30:31]
	s_delay_alu instid0(VALU_DEP_2) | instskip(NEXT) | instid1(VALU_DEP_2)
	v_fma_f64 v[30:31], v[32:33], v[28:29], -v[0:1]
	v_fma_f64 v[32:33], v[34:35], v[28:29], v[22:23]
	s_wait_loadcnt 0x1
	v_mul_f64_e32 v[0:1], v[38:39], v[46:47]
	v_mul_f64_e32 v[22:23], v[36:37], v[46:47]
	s_delay_alu instid0(VALU_DEP_2) | instskip(NEXT) | instid1(VALU_DEP_2)
	v_fma_f64 v[34:35], v[36:37], v[44:45], -v[0:1]
	v_fma_f64 v[36:37], v[38:39], v[44:45], v[22:23]
	s_clause 0x1
	global_load_b128 v[44:47], v64, s[0:1] offset:15120
	global_load_b128 v[52:55], v64, s[0:1] offset:16128
	s_wait_loadcnt_dscnt 0x100
	v_mul_f64_e32 v[0:1], v[42:43], v[46:47]
	v_mul_f64_e32 v[22:23], v[40:41], v[46:47]
	s_delay_alu instid0(VALU_DEP_2) | instskip(NEXT) | instid1(VALU_DEP_2)
	v_fma_f64 v[38:39], v[40:41], v[44:45], -v[0:1]
	v_fma_f64 v[40:41], v[42:43], v[44:45], v[22:23]
	ds_load_b128 v[42:45], v96 offset:4032
	ds_load_b128 v[56:59], v96 offset:5040
	s_wait_dscnt 0x1
	v_mul_f64_e32 v[0:1], v[44:45], v[50:51]
	v_mul_f64_e32 v[22:23], v[42:43], v[50:51]
	s_delay_alu instid0(VALU_DEP_2) | instskip(NEXT) | instid1(VALU_DEP_2)
	v_fma_f64 v[42:43], v[42:43], v[48:49], -v[0:1]
	v_fma_f64 v[44:45], v[44:45], v[48:49], v[22:23]
	ds_load_b128 v[46:49], v96 offset:16128
	ds_load_b128 v[60:63], v96 offset:17136
	s_wait_loadcnt_dscnt 0x1
	v_mul_f64_e32 v[0:1], v[48:49], v[54:55]
	v_mul_f64_e32 v[22:23], v[46:47], v[54:55]
	s_delay_alu instid0(VALU_DEP_2) | instskip(NEXT) | instid1(VALU_DEP_2)
	v_fma_f64 v[46:47], v[46:47], v[52:53], -v[0:1]
	v_fma_f64 v[48:49], v[48:49], v[52:53], v[22:23]
	s_clause 0x1
	global_load_b128 v[50:53], v64, s[0:1] offset:5040
	global_load_b128 v[80:83], v64, s[0:1] offset:6048
	s_wait_loadcnt 0x1
	v_mul_f64_e32 v[0:1], v[58:59], v[52:53]
	v_mul_f64_e32 v[22:23], v[56:57], v[52:53]
	s_delay_alu instid0(VALU_DEP_2) | instskip(NEXT) | instid1(VALU_DEP_2)
	v_fma_f64 v[52:53], v[56:57], v[50:51], -v[0:1]
	v_fma_f64 v[54:55], v[58:59], v[50:51], v[22:23]
	s_clause 0x1
	global_load_b128 v[56:59], v64, s[0:1] offset:17136
	global_load_b128 v[180:183], v64, s[0:1] offset:18144
	ds_load_b128 v[184:187], v96 offset:6048
	ds_load_b128 v[188:191], v96 offset:7056
	s_wait_loadcnt_dscnt 0x102
	v_mul_f64_e32 v[0:1], v[62:63], v[58:59]
	v_mul_f64_e32 v[22:23], v[60:61], v[58:59]
	s_delay_alu instid0(VALU_DEP_2) | instskip(NEXT) | instid1(VALU_DEP_2)
	v_fma_f64 v[58:59], v[60:61], v[56:57], -v[0:1]
	v_fma_f64 v[60:61], v[62:63], v[56:57], v[22:23]
	s_wait_dscnt 0x1
	v_mul_f64_e32 v[0:1], v[186:187], v[82:83]
	v_mul_f64_e32 v[22:23], v[184:185], v[82:83]
	s_delay_alu instid0(VALU_DEP_2) | instskip(NEXT) | instid1(VALU_DEP_2)
	v_fma_f64 v[184:185], v[184:185], v[80:81], -v[0:1]
	v_fma_f64 v[186:187], v[186:187], v[80:81], v[22:23]
	ds_load_b128 v[80:83], v96 offset:18144
	ds_load_b128 v[192:195], v96 offset:19152
	s_wait_loadcnt_dscnt 0x1
	v_mul_f64_e32 v[0:1], v[82:83], v[182:183]
	v_mul_f64_e32 v[22:23], v[80:81], v[182:183]
	s_delay_alu instid0(VALU_DEP_2) | instskip(NEXT) | instid1(VALU_DEP_2)
	v_fma_f64 v[80:81], v[80:81], v[180:181], -v[0:1]
	v_fma_f64 v[82:83], v[82:83], v[180:181], v[22:23]
	s_clause 0x1
	global_load_b128 v[180:183], v64, s[0:1] offset:7056
	global_load_b128 v[196:199], v64, s[0:1] offset:8064
	s_wait_loadcnt 0x1
	v_mul_f64_e32 v[0:1], v[190:191], v[182:183]
	v_mul_f64_e32 v[22:23], v[188:189], v[182:183]
	s_delay_alu instid0(VALU_DEP_2) | instskip(NEXT) | instid1(VALU_DEP_2)
	v_fma_f64 v[188:189], v[188:189], v[180:181], -v[0:1]
	v_fma_f64 v[190:191], v[190:191], v[180:181], v[22:23]
	s_clause 0x1
	global_load_b128 v[180:183], v64, s[0:1] offset:19152
	global_load_b128 v[200:203], v64, s[0:1] offset:20160
	s_wait_loadcnt_dscnt 0x100
	v_mul_f64_e32 v[0:1], v[194:195], v[182:183]
	v_mul_f64_e32 v[22:23], v[192:193], v[182:183]
	s_delay_alu instid0(VALU_DEP_2) | instskip(NEXT) | instid1(VALU_DEP_2)
	v_fma_f64 v[192:193], v[192:193], v[180:181], -v[0:1]
	v_fma_f64 v[194:195], v[194:195], v[180:181], v[22:23]
	ds_load_b128 v[180:183], v96 offset:8064
	ds_load_b128 v[204:207], v96 offset:9072
	s_wait_dscnt 0x1
	v_mul_f64_e32 v[0:1], v[182:183], v[198:199]
	v_mul_f64_e32 v[22:23], v[180:181], v[198:199]
	s_delay_alu instid0(VALU_DEP_2) | instskip(NEXT) | instid1(VALU_DEP_2)
	v_fma_f64 v[180:181], v[180:181], v[196:197], -v[0:1]
	v_fma_f64 v[182:183], v[182:183], v[196:197], v[22:23]
	ds_load_b128 v[196:199], v96 offset:20160
	ds_load_b128 v[208:211], v96 offset:21168
	s_wait_loadcnt_dscnt 0x1
	v_mul_f64_e32 v[0:1], v[198:199], v[202:203]
	v_mul_f64_e32 v[22:23], v[196:197], v[202:203]
	s_delay_alu instid0(VALU_DEP_2) | instskip(NEXT) | instid1(VALU_DEP_2)
	v_fma_f64 v[196:197], v[196:197], v[200:201], -v[0:1]
	v_fma_f64 v[198:199], v[198:199], v[200:201], v[22:23]
	s_clause 0x3
	global_load_b128 v[200:203], v64, s[0:1] offset:9072
	global_load_b128 v[212:215], v64, s[0:1] offset:10080
	;; [unrolled: 1-line block ×4, first 2 shown]
	s_wait_loadcnt 0x3
	v_mul_f64_e32 v[0:1], v[206:207], v[202:203]
	v_mul_f64_e32 v[22:23], v[204:205], v[202:203]
	s_delay_alu instid0(VALU_DEP_2) | instskip(NEXT) | instid1(VALU_DEP_2)
	v_fma_f64 v[202:203], v[204:205], v[200:201], -v[0:1]
	v_fma_f64 v[204:205], v[206:207], v[200:201], v[22:23]
	s_wait_loadcnt_dscnt 0x100
	v_mul_f64_e32 v[0:1], v[210:211], v[218:219]
	v_mul_f64_e32 v[22:23], v[208:209], v[218:219]
	s_delay_alu instid0(VALU_DEP_2) | instskip(NEXT) | instid1(VALU_DEP_2)
	v_fma_f64 v[206:207], v[208:209], v[216:217], -v[0:1]
	v_fma_f64 v[208:209], v[210:211], v[216:217], v[22:23]
	ds_load_b128 v[216:219], v96 offset:10080
	ds_load_b128 v[224:227], v96 offset:11088
	s_wait_dscnt 0x1
	v_mul_f64_e32 v[0:1], v[218:219], v[214:215]
	v_mul_f64_e32 v[22:23], v[216:217], v[214:215]
	s_delay_alu instid0(VALU_DEP_2)
	v_fma_f64 v[210:211], v[216:217], v[212:213], -v[0:1]
	ds_load_b128 v[214:217], v96 offset:22176
	ds_load_b128 v[228:231], v96 offset:23184
	v_fma_f64 v[212:213], v[218:219], v[212:213], v[22:23]
	s_wait_loadcnt_dscnt 0x1
	v_mul_f64_e32 v[0:1], v[216:217], v[222:223]
	v_mul_f64_e32 v[22:23], v[214:215], v[222:223]
	s_delay_alu instid0(VALU_DEP_2) | instskip(SKIP_2) | instid1(VALU_DEP_4)
	v_fma_f64 v[214:215], v[214:215], v[220:221], -v[0:1]
	v_mul_f64_e32 v[0:1], v[226:227], v[26:27]
	v_mul_f64_e32 v[26:27], v[224:225], v[26:27]
	v_fma_f64 v[216:217], v[216:217], v[220:221], v[22:23]
	s_delay_alu instid0(VALU_DEP_3) | instskip(NEXT) | instid1(VALU_DEP_3)
	v_fma_f64 v[22:23], v[224:225], v[24:25], -v[0:1]
	v_fma_f64 v[24:25], v[226:227], v[24:25], v[26:27]
	global_load_b128 v[26:29], v64, s[0:1] offset:23184
	v_lshlrev_b32_e32 v64, 5, v97
	s_mov_b32 s0, 0xe8584caa
	s_mov_b32 s1, 0xbfebb67a
	s_wait_alu 0xfffe
	s_mov_b32 s8, s0
	s_wait_loadcnt_dscnt 0x0
	v_mul_f64_e32 v[0:1], v[230:231], v[28:29]
	v_mul_f64_e32 v[28:29], v[228:229], v[28:29]
	s_delay_alu instid0(VALU_DEP_2) | instskip(NEXT) | instid1(VALU_DEP_2)
	v_fma_f64 v[218:219], v[228:229], v[26:27], -v[0:1]
	v_fma_f64 v[220:221], v[230:231], v[26:27], v[28:29]
	ds_store_b128 v96, v[2:5]
	ds_store_b128 v96, v[6:9] offset:1008
	ds_store_b128 v96, v[14:17] offset:12096
	;; [unrolled: 1-line block ×23, first 2 shown]
	global_wb scope:SCOPE_SE
	s_wait_dscnt 0x0
	s_barrier_signal -1
	s_barrier_wait -1
	global_inv scope:SCOPE_SE
	ds_load_b128 v[0:3], v96 offset:12096
	ds_load_b128 v[4:7], v96
	ds_load_b128 v[8:11], v96 offset:1008
	ds_load_b128 v[12:15], v96 offset:13104
	;; [unrolled: 1-line block ×22, first 2 shown]
	global_wb scope:SCOPE_SE
	s_wait_dscnt 0x0
	s_barrier_signal -1
	s_barrier_wait -1
	global_inv scope:SCOPE_SE
	v_add_f64_e64 v[0:1], v[4:5], -v[0:1]
	v_add_f64_e64 v[2:3], v[6:7], -v[2:3]
	s_delay_alu instid0(VALU_DEP_2) | instskip(NEXT) | instid1(VALU_DEP_2)
	v_fma_f64 v[4:5], v[4:5], 2.0, -v[0:1]
	v_fma_f64 v[6:7], v[6:7], 2.0, -v[2:3]
	ds_store_b128 v64, v[0:3] offset:16
	ds_store_b128 v64, v[4:7]
	v_add_f64_e64 v[0:1], v[8:9], -v[12:13]
	v_add_f64_e64 v[2:3], v[10:11], -v[14:15]
	s_delay_alu instid0(VALU_DEP_2)
	v_fma_f64 v[4:5], v[8:9], 2.0, -v[0:1]
	scratch_load_b32 v8, off, off offset:1660 th:TH_LOAD_LU ; 4-byte Folded Reload
	v_fma_f64 v[6:7], v[10:11], 2.0, -v[2:3]
	s_wait_loadcnt 0x0
	ds_store_b128 v8, v[4:7]
	ds_store_b128 v8, v[0:3] offset:16
	scratch_load_b32 v8, off, off offset:1656 th:TH_LOAD_LU ; 4-byte Folded Reload
	v_add_f64_e64 v[0:1], v[16:17], -v[24:25]
	v_add_f64_e64 v[2:3], v[18:19], -v[26:27]
	s_delay_alu instid0(VALU_DEP_2) | instskip(NEXT) | instid1(VALU_DEP_2)
	v_fma_f64 v[4:5], v[16:17], 2.0, -v[0:1]
	v_fma_f64 v[6:7], v[18:19], 2.0, -v[2:3]
	s_wait_loadcnt 0x0
	ds_store_b128 v8, v[4:7]
	ds_store_b128 v8, v[0:3] offset:16
	scratch_load_b32 v8, off, off offset:1652 th:TH_LOAD_LU ; 4-byte Folded Reload
	v_add_f64_e64 v[0:1], v[20:21], -v[28:29]
	v_add_f64_e64 v[2:3], v[22:23], -v[30:31]
	s_delay_alu instid0(VALU_DEP_2) | instskip(NEXT) | instid1(VALU_DEP_2)
	v_fma_f64 v[4:5], v[20:21], 2.0, -v[0:1]
	;; [unrolled: 9-line block ×10, first 2 shown]
	v_fma_f64 v[6:7], v[198:199], 2.0, -v[2:3]
	s_wait_loadcnt 0x0
	ds_store_b128 v8, v[4:7]
	ds_store_b128 v8, v[0:3] offset:16
	global_wb scope:SCOPE_SE
	s_wait_dscnt 0x0
	s_barrier_signal -1
	s_barrier_wait -1
	global_inv scope:SCOPE_SE
	ds_load_b128 v[0:3], v96 offset:15120
	ds_load_b128 v[4:7], v96 offset:14112
	s_wait_dscnt 0x1
	v_mul_f64_e32 v[8:9], v[174:175], v[2:3]
	s_delay_alu instid0(VALU_DEP_1) | instskip(SKIP_1) | instid1(VALU_DEP_1)
	v_fma_f64 v[52:53], v[172:173], v[0:1], v[8:9]
	v_mul_f64_e32 v[0:1], v[174:175], v[0:1]
	v_fma_f64 v[54:55], v[172:173], v[2:3], -v[0:1]
	ds_load_b128 v[0:3], v96 offset:17136
	ds_load_b128 v[8:11], v96 offset:16128
	s_wait_dscnt 0x1
	v_mul_f64_e32 v[12:13], v[166:167], v[2:3]
	s_delay_alu instid0(VALU_DEP_1) | instskip(SKIP_1) | instid1(VALU_DEP_1)
	v_fma_f64 v[56:57], v[164:165], v[0:1], v[12:13]
	v_mul_f64_e32 v[0:1], v[166:167], v[0:1]
	v_fma_f64 v[58:59], v[164:165], v[2:3], -v[0:1]
	;; [unrolled: 8-line block ×5, first 2 shown]
	v_mul_f64_e32 v[0:1], v[158:159], v[6:7]
	s_delay_alu instid0(VALU_DEP_1) | instskip(SKIP_1) | instid1(VALU_DEP_1)
	v_fma_f64 v[68:69], v[156:157], v[4:5], v[0:1]
	v_mul_f64_e32 v[0:1], v[158:159], v[4:5]
	v_fma_f64 v[70:71], v[156:157], v[6:7], -v[0:1]
	v_mul_f64_e32 v[0:1], v[158:159], v[10:11]
	s_delay_alu instid0(VALU_DEP_1) | instskip(SKIP_1) | instid1(VALU_DEP_1)
	v_fma_f64 v[72:73], v[156:157], v[8:9], v[0:1]
	v_mul_f64_e32 v[0:1], v[158:159], v[8:9]
	v_fma_f64 v[74:75], v[156:157], v[10:11], -v[0:1]
	;; [unrolled: 5-line block ×4, first 2 shown]
	ds_load_b128 v[0:3], v96 offset:22176
	ds_load_b128 v[4:7], v96 offset:23184
	s_wait_dscnt 0x1
	v_mul_f64_e32 v[8:9], v[158:159], v[2:3]
	s_delay_alu instid0(VALU_DEP_1) | instskip(SKIP_1) | instid1(VALU_DEP_1)
	v_fma_f64 v[88:89], v[156:157], v[0:1], v[8:9]
	v_mul_f64_e32 v[0:1], v[158:159], v[0:1]
	v_fma_f64 v[90:91], v[156:157], v[2:3], -v[0:1]
	scratch_load_b64 v[2:3], off, off offset:1612 th:TH_LOAD_LU ; 8-byte Folded Reload
	s_wait_loadcnt_dscnt 0x0
	v_mul_f64_e32 v[0:1], v[2:3], v[6:7]
	v_mul_f64_e32 v[2:3], v[2:3], v[4:5]
	s_delay_alu instid0(VALU_DEP_2)
	v_fma_f64 v[92:93], v[160:161], v[4:5], v[0:1]
	scratch_load_b64 v[4:5], off, off offset:1604 th:TH_LOAD_LU ; 8-byte Folded Reload
	v_fma_f64 v[94:95], v[160:161], v[6:7], -v[2:3]
	v_mul_f64_e32 v[0:1], v[162:163], v[22:23]
	v_mul_f64_e32 v[2:3], v[162:163], v[20:21]
	s_wait_loadcnt 0x0
	s_delay_alu instid0(VALU_DEP_2) | instskip(NEXT) | instid1(VALU_DEP_2)
	v_fma_f64 v[98:99], v[4:5], v[20:21], v[0:1]
	v_fma_f64 v[100:101], v[4:5], v[22:23], -v[2:3]
	ds_load_b128 v[0:3], v96
	ds_load_b128 v[4:7], v96 offset:1008
	s_wait_dscnt 0x1
	v_add_f64_e64 v[8:9], v[0:1], -v[24:25]
	v_add_f64_e64 v[10:11], v[2:3], -v[26:27]
	ds_load_b128 v[12:15], v96 offset:2016
	ds_load_b128 v[16:19], v96 offset:3024
	;; [unrolled: 1-line block ×10, first 2 shown]
	global_wb scope:SCOPE_SE
	s_wait_dscnt 0x0
	s_barrier_signal -1
	s_barrier_wait -1
	global_inv scope:SCOPE_SE
	scratch_load_b32 v102, off, off offset:1600 th:TH_LOAD_LU ; 4-byte Folded Reload
	v_fma_f64 v[0:1], v[0:1], 2.0, -v[8:9]
	v_fma_f64 v[2:3], v[2:3], 2.0, -v[10:11]
	s_wait_loadcnt 0x0
	ds_store_b128 v102, v[8:11] offset:32
	ds_store_b128 v102, v[0:3]
	scratch_load_b32 v8, off, off offset:1596 th:TH_LOAD_LU ; 4-byte Folded Reload
	v_add_f64_e64 v[0:1], v[4:5], -v[98:99]
	v_add_f64_e64 v[2:3], v[6:7], -v[100:101]
	s_delay_alu instid0(VALU_DEP_2) | instskip(NEXT) | instid1(VALU_DEP_2)
	v_fma_f64 v[4:5], v[4:5], 2.0, -v[0:1]
	v_fma_f64 v[6:7], v[6:7], 2.0, -v[2:3]
	s_wait_loadcnt 0x0
	ds_store_b128 v8, v[4:7]
	ds_store_b128 v8, v[0:3] offset:32
	scratch_load_b32 v8, off, off offset:1592 th:TH_LOAD_LU ; 4-byte Folded Reload
	v_add_f64_e64 v[0:1], v[12:13], -v[68:69]
	v_add_f64_e64 v[2:3], v[14:15], -v[70:71]
	s_delay_alu instid0(VALU_DEP_2) | instskip(NEXT) | instid1(VALU_DEP_2)
	v_fma_f64 v[4:5], v[12:13], 2.0, -v[0:1]
	v_fma_f64 v[6:7], v[14:15], 2.0, -v[2:3]
	s_wait_loadcnt 0x0
	ds_store_b128 v8, v[4:7]
	ds_store_b128 v8, v[0:3] offset:32
	;; [unrolled: 9-line block ×11, first 2 shown]
	global_wb scope:SCOPE_SE
	s_wait_dscnt 0x0
	s_barrier_signal -1
	s_barrier_wait -1
	global_inv scope:SCOPE_SE
	ds_load_b128 v[0:3], v96 offset:17136
	ds_load_b128 v[4:7], v96 offset:16128
	s_wait_dscnt 0x1
	v_mul_f64_e32 v[8:9], v[150:151], v[2:3]
	s_delay_alu instid0(VALU_DEP_1) | instskip(SKIP_1) | instid1(VALU_DEP_1)
	v_fma_f64 v[52:53], v[148:149], v[0:1], v[8:9]
	v_mul_f64_e32 v[0:1], v[150:151], v[0:1]
	v_fma_f64 v[54:55], v[148:149], v[2:3], -v[0:1]
	ds_load_b128 v[0:3], v96 offset:18144
	ds_load_b128 v[8:11], v96 offset:19152
	s_wait_dscnt 0x1
	v_mul_f64_e32 v[12:13], v[146:147], v[2:3]
	s_delay_alu instid0(VALU_DEP_1) | instskip(SKIP_1) | instid1(VALU_DEP_1)
	v_fma_f64 v[56:57], v[144:145], v[0:1], v[12:13]
	v_mul_f64_e32 v[0:1], v[146:147], v[0:1]
	v_fma_f64 v[58:59], v[144:145], v[2:3], -v[0:1]
	s_wait_dscnt 0x0
	v_mul_f64_e32 v[0:1], v[154:155], v[10:11]
	s_delay_alu instid0(VALU_DEP_1) | instskip(SKIP_1) | instid1(VALU_DEP_1)
	v_fma_f64 v[60:61], v[152:153], v[8:9], v[0:1]
	v_mul_f64_e32 v[0:1], v[154:155], v[8:9]
	v_fma_f64 v[62:63], v[152:153], v[10:11], -v[0:1]
	ds_load_b128 v[0:3], v96 offset:12096
	ds_load_b128 v[8:11], v96 offset:13104
	s_wait_dscnt 0x1
	v_mul_f64_e32 v[12:13], v[138:139], v[2:3]
	s_delay_alu instid0(VALU_DEP_1) | instskip(SKIP_1) | instid1(VALU_DEP_1)
	v_fma_f64 v[12:13], v[136:137], v[0:1], v[12:13]
	v_mul_f64_e32 v[0:1], v[138:139], v[0:1]
	v_fma_f64 v[14:15], v[136:137], v[2:3], -v[0:1]
	v_mul_f64_e32 v[0:1], v[138:139], v[6:7]
	s_delay_alu instid0(VALU_DEP_1) | instskip(SKIP_1) | instid1(VALU_DEP_1)
	v_fma_f64 v[64:65], v[136:137], v[4:5], v[0:1]
	v_mul_f64_e32 v[0:1], v[138:139], v[4:5]
	v_fma_f64 v[66:67], v[136:137], v[6:7], -v[0:1]
	ds_load_b128 v[0:3], v96 offset:20160
	ds_load_b128 v[4:7], v96 offset:21168
	s_wait_dscnt 0x1
	v_mul_f64_e32 v[16:17], v[138:139], v[2:3]
	s_delay_alu instid0(VALU_DEP_1) | instskip(SKIP_1) | instid1(VALU_DEP_1)
	v_fma_f64 v[68:69], v[136:137], v[0:1], v[16:17]
	v_mul_f64_e32 v[0:1], v[138:139], v[0:1]
	v_fma_f64 v[70:71], v[136:137], v[2:3], -v[0:1]
	scratch_load_b64 v[2:3], off, off offset:1540 th:TH_LOAD_LU ; 8-byte Folded Reload
	s_wait_loadcnt_dscnt 0x0
	v_mul_f64_e32 v[0:1], v[2:3], v[6:7]
	v_mul_f64_e32 v[2:3], v[2:3], v[4:5]
	s_delay_alu instid0(VALU_DEP_2)
	v_fma_f64 v[72:73], v[140:141], v[4:5], v[0:1]
	scratch_load_b64 v[4:5], off, off offset:1524 th:TH_LOAD_LU ; 8-byte Folded Reload
	v_fma_f64 v[74:75], v[140:141], v[6:7], -v[2:3]
	v_mul_f64_e32 v[0:1], v[142:143], v[10:11]
	v_mul_f64_e32 v[2:3], v[142:143], v[8:9]
	s_wait_loadcnt 0x0
	s_delay_alu instid0(VALU_DEP_2) | instskip(NEXT) | instid1(VALU_DEP_2)
	v_fma_f64 v[80:81], v[4:5], v[8:9], v[0:1]
	v_fma_f64 v[82:83], v[4:5], v[10:11], -v[2:3]
	ds_load_b128 v[0:3], v96 offset:22176
	ds_load_b128 v[4:7], v96 offset:23184
	scratch_load_b64 v[10:11], off, off offset:1548 th:TH_LOAD_LU ; 8-byte Folded Reload
	s_wait_loadcnt_dscnt 0x1
	v_mul_f64_e32 v[8:9], v[10:11], v[2:3]
	v_mul_f64_e32 v[10:11], v[10:11], v[0:1]
	s_delay_alu instid0(VALU_DEP_2) | instskip(NEXT) | instid1(VALU_DEP_2)
	v_fma_f64 v[84:85], v[128:129], v[0:1], v[8:9]
	v_fma_f64 v[86:87], v[128:129], v[2:3], -v[10:11]
	ds_load_b128 v[0:3], v96 offset:14112
	ds_load_b128 v[8:11], v96 offset:15120
	scratch_load_b64 v[20:21], off, off offset:1508 th:TH_LOAD_LU ; 8-byte Folded Reload
	s_wait_dscnt 0x1
	v_mul_f64_e32 v[18:19], v[130:131], v[0:1]
	v_mul_f64_e32 v[16:17], v[130:131], v[2:3]
	s_wait_loadcnt 0x0
	s_delay_alu instid0(VALU_DEP_2)
	v_fma_f64 v[90:91], v[20:21], v[2:3], -v[18:19]
	scratch_load_b64 v[2:3], off, off offset:1532 th:TH_LOAD_LU ; 8-byte Folded Reload
	v_fma_f64 v[88:89], v[20:21], v[0:1], v[16:17]
	s_wait_loadcnt 0x0
	v_mul_f64_e32 v[0:1], v[2:3], v[6:7]
	v_mul_f64_e32 v[2:3], v[2:3], v[4:5]
	s_delay_alu instid0(VALU_DEP_2)
	v_fma_f64 v[92:93], v[132:133], v[4:5], v[0:1]
	scratch_load_b64 v[4:5], off, off offset:1516 th:TH_LOAD_LU ; 8-byte Folded Reload
	v_fma_f64 v[94:95], v[132:133], v[6:7], -v[2:3]
	s_wait_dscnt 0x0
	v_mul_f64_e32 v[0:1], v[134:135], v[10:11]
	v_mul_f64_e32 v[2:3], v[134:135], v[8:9]
	s_wait_loadcnt 0x0
	s_delay_alu instid0(VALU_DEP_2) | instskip(NEXT) | instid1(VALU_DEP_2)
	v_fma_f64 v[98:99], v[4:5], v[8:9], v[0:1]
	v_fma_f64 v[100:101], v[4:5], v[10:11], -v[2:3]
	ds_load_b128 v[0:3], v96
	ds_load_b128 v[4:7], v96 offset:1008
	s_wait_dscnt 0x1
	v_add_f64_e64 v[8:9], v[0:1], -v[12:13]
	v_add_f64_e64 v[10:11], v[2:3], -v[14:15]
	ds_load_b128 v[12:15], v96 offset:2016
	ds_load_b128 v[16:19], v96 offset:3024
	;; [unrolled: 1-line block ×10, first 2 shown]
	global_wb scope:SCOPE_SE
	s_wait_dscnt 0x0
	s_barrier_signal -1
	s_barrier_wait -1
	global_inv scope:SCOPE_SE
	scratch_load_b32 v102, off, off offset:1504 th:TH_LOAD_LU ; 4-byte Folded Reload
	v_fma_f64 v[0:1], v[0:1], 2.0, -v[8:9]
	v_fma_f64 v[2:3], v[2:3], 2.0, -v[10:11]
	s_wait_loadcnt 0x0
	ds_store_b128 v102, v[8:11] offset:64
	ds_store_b128 v102, v[0:3]
	scratch_load_b32 v8, off, off offset:1500 th:TH_LOAD_LU ; 4-byte Folded Reload
	v_add_f64_e64 v[0:1], v[4:5], -v[80:81]
	v_add_f64_e64 v[2:3], v[6:7], -v[82:83]
	s_delay_alu instid0(VALU_DEP_2) | instskip(NEXT) | instid1(VALU_DEP_2)
	v_fma_f64 v[4:5], v[4:5], 2.0, -v[0:1]
	v_fma_f64 v[6:7], v[6:7], 2.0, -v[2:3]
	s_wait_loadcnt 0x0
	ds_store_b128 v8, v[4:7]
	ds_store_b128 v8, v[0:3] offset:64
	scratch_load_b32 v8, off, off offset:1496 th:TH_LOAD_LU ; 4-byte Folded Reload
	v_add_f64_e64 v[0:1], v[12:13], -v[88:89]
	v_add_f64_e64 v[2:3], v[14:15], -v[90:91]
	s_delay_alu instid0(VALU_DEP_2) | instskip(NEXT) | instid1(VALU_DEP_2)
	v_fma_f64 v[4:5], v[12:13], 2.0, -v[0:1]
	v_fma_f64 v[6:7], v[14:15], 2.0, -v[2:3]
	s_wait_loadcnt 0x0
	ds_store_b128 v8, v[4:7]
	ds_store_b128 v8, v[0:3] offset:64
	;; [unrolled: 9-line block ×11, first 2 shown]
	global_wb scope:SCOPE_SE
	s_wait_dscnt 0x0
	s_barrier_signal -1
	s_barrier_wait -1
	global_inv scope:SCOPE_SE
	ds_load_b128 v[0:3], v96 offset:8064
	ds_load_b128 v[8:11], v96 offset:9072
	s_wait_dscnt 0x1
	v_mul_f64_e32 v[4:5], v[126:127], v[2:3]
	s_delay_alu instid0(VALU_DEP_1) | instskip(SKIP_1) | instid1(VALU_DEP_1)
	v_fma_f64 v[36:37], v[124:125], v[0:1], v[4:5]
	v_mul_f64_e32 v[0:1], v[126:127], v[0:1]
	v_fma_f64 v[38:39], v[124:125], v[2:3], -v[0:1]
	ds_load_b128 v[0:3], v96 offset:16128
	ds_load_b128 v[16:19], v96 offset:17136
	s_wait_dscnt 0x1
	v_mul_f64_e32 v[4:5], v[114:115], v[2:3]
	s_delay_alu instid0(VALU_DEP_1) | instskip(SKIP_1) | instid1(VALU_DEP_1)
	v_fma_f64 v[40:41], v[112:113], v[0:1], v[4:5]
	v_mul_f64_e32 v[0:1], v[114:115], v[0:1]
	v_fma_f64 v[42:43], v[112:113], v[2:3], -v[0:1]
	v_mul_f64_e32 v[0:1], v[122:123], v[10:11]
	s_delay_alu instid0(VALU_DEP_1) | instskip(SKIP_1) | instid1(VALU_DEP_1)
	v_fma_f64 v[6:7], v[120:121], v[8:9], v[0:1]
	v_mul_f64_e32 v[0:1], v[122:123], v[8:9]
	v_fma_f64 v[14:15], v[120:121], v[10:11], -v[0:1]
	s_wait_dscnt 0x0
	v_mul_f64_e32 v[0:1], v[118:119], v[18:19]
	s_delay_alu instid0(VALU_DEP_1) | instskip(SKIP_1) | instid1(VALU_DEP_1)
	v_fma_f64 v[64:65], v[116:117], v[16:17], v[0:1]
	v_mul_f64_e32 v[0:1], v[118:119], v[16:17]
	v_fma_f64 v[66:67], v[116:117], v[18:19], -v[0:1]
	ds_load_b128 v[0:3], v96 offset:10080
	ds_load_b128 v[8:11], v96 offset:11088
	s_wait_dscnt 0x1
	v_mul_f64_e32 v[4:5], v[78:79], v[2:3]
	s_delay_alu instid0(VALU_DEP_1) | instskip(SKIP_1) | instid1(VALU_DEP_1)
	v_fma_f64 v[16:17], v[76:77], v[0:1], v[4:5]
	v_mul_f64_e32 v[0:1], v[78:79], v[0:1]
	v_fma_f64 v[68:69], v[76:77], v[2:3], -v[0:1]
	ds_load_b128 v[0:3], v96 offset:18144
	ds_load_b128 v[18:21], v96 offset:19152
	scratch_load_b128 v[22:25], off, off offset:1412 th:TH_LOAD_LU ; 16-byte Folded Reload
	s_wait_loadcnt_dscnt 0x1
	v_mul_f64_e32 v[4:5], v[24:25], v[2:3]
	s_delay_alu instid0(VALU_DEP_1) | instskip(SKIP_1) | instid1(VALU_DEP_1)
	v_fma_f64 v[70:71], v[22:23], v[0:1], v[4:5]
	v_mul_f64_e32 v[0:1], v[24:25], v[0:1]
	v_fma_f64 v[72:73], v[22:23], v[2:3], -v[0:1]
	scratch_load_b128 v[22:25], off, off offset:1444 th:TH_LOAD_LU ; 16-byte Folded Reload
	s_wait_loadcnt 0x0
	v_mul_f64_e32 v[0:1], v[24:25], v[10:11]
	s_delay_alu instid0(VALU_DEP_1) | instskip(SKIP_1) | instid1(VALU_DEP_1)
	v_fma_f64 v[2:3], v[22:23], v[8:9], v[0:1]
	v_mul_f64_e32 v[0:1], v[24:25], v[8:9]
	v_fma_f64 v[8:9], v[22:23], v[10:11], -v[0:1]
	scratch_load_b128 v[10:13], off, off offset:1428 th:TH_LOAD_LU ; 16-byte Folded Reload
	s_wait_loadcnt_dscnt 0x0
	v_mul_f64_e32 v[0:1], v[12:13], v[20:21]
	s_delay_alu instid0(VALU_DEP_1) | instskip(SKIP_1) | instid1(VALU_DEP_1)
	v_fma_f64 v[22:23], v[10:11], v[18:19], v[0:1]
	v_mul_f64_e32 v[0:1], v[12:13], v[18:19]
	v_fma_f64 v[74:75], v[10:11], v[20:21], -v[0:1]
	ds_load_b128 v[18:21], v96 offset:12096
	ds_load_b128 v[24:27], v96 offset:13104
	scratch_load_b128 v[28:31], off, off offset:1396 th:TH_LOAD_LU ; 16-byte Folded Reload
	s_wait_loadcnt_dscnt 0x1
	v_mul_f64_e32 v[0:1], v[30:31], v[20:21]
	s_delay_alu instid0(VALU_DEP_1) | instskip(SKIP_1) | instid1(VALU_DEP_1)
	v_fma_f64 v[10:11], v[28:29], v[18:19], v[0:1]
	v_mul_f64_e32 v[0:1], v[30:31], v[18:19]
	v_fma_f64 v[18:19], v[28:29], v[20:21], -v[0:1]
	ds_load_b128 v[28:31], v96 offset:20160
	ds_load_b128 v[32:35], v96 offset:21168
	scratch_load_b128 v[44:47], off, off offset:1348 th:TH_LOAD_LU ; 16-byte Folded Reload
	s_wait_loadcnt_dscnt 0x1
	v_mul_f64_e32 v[0:1], v[46:47], v[30:31]
	s_delay_alu instid0(VALU_DEP_1) | instskip(SKIP_1) | instid1(VALU_DEP_1)
	v_fma_f64 v[76:77], v[44:45], v[28:29], v[0:1]
	v_mul_f64_e32 v[0:1], v[46:47], v[28:29]
	v_fma_f64 v[78:79], v[44:45], v[30:31], -v[0:1]
	scratch_load_b128 v[28:31], off, off offset:1380 th:TH_LOAD_LU ; 16-byte Folded Reload
	s_wait_loadcnt 0x0
	v_mul_f64_e32 v[0:1], v[30:31], v[26:27]
	v_mul_f64_e32 v[4:5], v[30:31], v[24:25]
	s_delay_alu instid0(VALU_DEP_2) | instskip(NEXT) | instid1(VALU_DEP_2)
	v_fma_f64 v[0:1], v[28:29], v[24:25], v[0:1]
	v_fma_f64 v[4:5], v[28:29], v[26:27], -v[4:5]
	scratch_load_b128 v[24:27], off, off offset:1364 th:TH_LOAD_LU ; 16-byte Folded Reload
	s_wait_loadcnt_dscnt 0x0
	v_mul_f64_e32 v[12:13], v[26:27], v[34:35]
	v_mul_f64_e32 v[20:21], v[26:27], v[32:33]
	s_delay_alu instid0(VALU_DEP_2) | instskip(NEXT) | instid1(VALU_DEP_2)
	v_fma_f64 v[12:13], v[24:25], v[32:33], v[12:13]
	v_fma_f64 v[20:21], v[24:25], v[34:35], -v[20:21]
	ds_load_b128 v[24:27], v96 offset:14112
	ds_load_b128 v[28:31], v96 offset:15120
	scratch_load_b128 v[44:47], off, off offset:1332 th:TH_LOAD_LU ; 16-byte Folded Reload
	s_wait_loadcnt_dscnt 0x1
	v_mul_f64_e32 v[32:33], v[46:47], v[26:27]
	s_delay_alu instid0(VALU_DEP_1) | instskip(SKIP_1) | instid1(VALU_DEP_1)
	v_fma_f64 v[80:81], v[44:45], v[24:25], v[32:33]
	v_mul_f64_e32 v[24:25], v[46:47], v[24:25]
	v_fma_f64 v[82:83], v[44:45], v[26:27], -v[24:25]
	ds_load_b128 v[24:27], v96 offset:22176
	ds_load_b128 v[32:35], v96 offset:23184
	scratch_load_b128 v[46:49], off, off offset:1284 th:TH_LOAD_LU ; 16-byte Folded Reload
	s_wait_loadcnt_dscnt 0x1
	v_mul_f64_e32 v[44:45], v[48:49], v[26:27]
	s_delay_alu instid0(VALU_DEP_1) | instskip(SKIP_1) | instid1(VALU_DEP_1)
	v_fma_f64 v[84:85], v[46:47], v[24:25], v[44:45]
	v_mul_f64_e32 v[24:25], v[48:49], v[24:25]
	v_fma_f64 v[86:87], v[46:47], v[26:27], -v[24:25]
	scratch_load_b128 v[44:47], off, off offset:1316 th:TH_LOAD_LU ; 16-byte Folded Reload
	s_wait_loadcnt 0x0
	v_mul_f64_e32 v[24:25], v[46:47], v[30:31]
	s_delay_alu instid0(VALU_DEP_1)
	v_fma_f64 v[88:89], v[44:45], v[28:29], v[24:25]
	v_mul_f64_e32 v[24:25], v[46:47], v[28:29]
	scratch_load_b128 v[26:29], off, off offset:1300 th:TH_LOAD_LU ; 16-byte Folded Reload
	v_fma_f64 v[90:91], v[44:45], v[30:31], -v[24:25]
	s_wait_loadcnt_dscnt 0x0
	v_mul_f64_e32 v[24:25], v[28:29], v[34:35]
	s_delay_alu instid0(VALU_DEP_1) | instskip(SKIP_2) | instid1(VALU_DEP_2)
	v_fma_f64 v[92:93], v[26:27], v[32:33], v[24:25]
	v_mul_f64_e32 v[24:25], v[28:29], v[32:33]
	v_add_f64_e32 v[32:33], v[36:37], v[40:41]
	v_fma_f64 v[94:95], v[26:27], v[34:35], -v[24:25]
	ds_load_b128 v[24:27], v96
	ds_load_b128 v[28:31], v96 offset:1008
	s_wait_dscnt 0x1
	v_fma_f64 v[34:35], v[32:33], -0.5, v[24:25]
	v_add_f64_e32 v[32:33], v[38:39], v[42:43]
	v_add_f64_e32 v[24:25], v[24:25], v[36:37]
	s_delay_alu instid0(VALU_DEP_2) | instskip(SKIP_2) | instid1(VALU_DEP_4)
	v_fma_f64 v[44:45], v[32:33], -0.5, v[26:27]
	v_add_f64_e32 v[26:27], v[26:27], v[38:39]
	v_add_f64_e64 v[38:39], v[38:39], -v[42:43]
	v_add_f64_e32 v[24:25], v[24:25], v[40:41]
	v_add_f64_e64 v[40:41], v[36:37], -v[40:41]
	s_delay_alu instid0(VALU_DEP_4) | instskip(NEXT) | instid1(VALU_DEP_4)
	v_add_f64_e32 v[26:27], v[26:27], v[42:43]
	v_fma_f64 v[32:33], v[38:39], s[0:1], v[34:35]
	s_wait_alu 0xfffe
	v_fma_f64 v[36:37], v[38:39], s[8:9], v[34:35]
	s_delay_alu instid0(VALU_DEP_4)
	v_fma_f64 v[34:35], v[40:41], s[8:9], v[44:45]
	v_fma_f64 v[38:39], v[40:41], s[0:1], v[44:45]
	ds_load_b128 v[40:43], v96 offset:2016
	ds_load_b128 v[44:47], v96 offset:3024
	;; [unrolled: 1-line block ×6, first 2 shown]
	global_wb scope:SCOPE_SE
	s_wait_dscnt 0x0
	s_barrier_signal -1
	s_barrier_wait -1
	global_inv scope:SCOPE_SE
	scratch_load_b32 v98, off, off offset:1280 th:TH_LOAD_LU ; 4-byte Folded Reload
	s_wait_loadcnt 0x0
	ds_store_b128 v98, v[24:27]
	ds_store_b128 v98, v[32:35] offset:128
	ds_store_b128 v98, v[36:39] offset:256
	v_add_f64_e32 v[24:25], v[6:7], v[64:65]
	s_delay_alu instid0(VALU_DEP_1) | instskip(SKIP_3) | instid1(VALU_DEP_3)
	v_fma_f64 v[32:33], v[24:25], -0.5, v[28:29]
	v_add_f64_e32 v[24:25], v[14:15], v[66:67]
	v_add_f64_e32 v[28:29], v[28:29], v[6:7]
	v_add_f64_e64 v[6:7], v[6:7], -v[64:65]
	v_fma_f64 v[34:35], v[24:25], -0.5, v[30:31]
	v_add_f64_e32 v[24:25], v[30:31], v[14:15]
	v_add_f64_e64 v[14:15], v[14:15], -v[66:67]
	s_delay_alu instid0(VALU_DEP_3)
	v_fma_f64 v[30:31], v[6:7], s[8:9], v[34:35]
	v_fma_f64 v[34:35], v[6:7], s[0:1], v[34:35]
	scratch_load_b32 v6, off, off offset:1276 th:TH_LOAD_LU ; 4-byte Folded Reload
	v_add_f64_e32 v[26:27], v[24:25], v[66:67]
	v_add_f64_e32 v[24:25], v[28:29], v[64:65]
	v_fma_f64 v[28:29], v[14:15], s[0:1], v[32:33]
	v_fma_f64 v[32:33], v[14:15], s[8:9], v[32:33]
	v_add_f64_e32 v[14:15], v[68:69], v[72:73]
	s_wait_loadcnt 0x0
	ds_store_b128 v6, v[24:27]
	ds_store_b128 v6, v[28:31] offset:128
	ds_store_b128 v6, v[32:35] offset:256
	v_add_f64_e32 v[6:7], v[16:17], v[70:71]
	v_fma_f64 v[30:31], v[14:15], -0.5, v[42:43]
	v_add_f64_e32 v[14:15], v[42:43], v[68:69]
	v_add_f64_e64 v[28:29], v[68:69], -v[72:73]
	v_add_f64_e32 v[24:25], v[40:41], v[16:17]
	v_add_f64_e64 v[32:33], v[16:17], -v[70:71]
	v_fma_f64 v[6:7], v[6:7], -0.5, v[40:41]
	v_add_f64_e32 v[26:27], v[14:15], v[72:73]
	s_delay_alu instid0(VALU_DEP_4) | instskip(NEXT) | instid1(VALU_DEP_4)
	v_add_f64_e32 v[24:25], v[24:25], v[70:71]
	v_fma_f64 v[16:17], v[32:33], s[8:9], v[30:31]
	v_fma_f64 v[30:31], v[32:33], s[0:1], v[30:31]
	;; [unrolled: 1-line block ×4, first 2 shown]
	scratch_load_b32 v6, off, off offset:1272 th:TH_LOAD_LU ; 4-byte Folded Reload
	s_wait_loadcnt 0x0
	ds_store_b128 v6, v[24:27]
	ds_store_b128 v6, v[14:17] offset:128
	ds_store_b128 v6, v[28:31] offset:256
	v_add_f64_e32 v[6:7], v[2:3], v[22:23]
	v_add_f64_e32 v[14:15], v[44:45], v[2:3]
	v_add_f64_e64 v[26:27], v[8:9], -v[74:75]
	v_add_f64_e64 v[2:3], v[2:3], -v[22:23]
	s_delay_alu instid0(VALU_DEP_4) | instskip(SKIP_1) | instid1(VALU_DEP_1)
	v_fma_f64 v[16:17], v[6:7], -0.5, v[44:45]
	v_add_f64_e32 v[6:7], v[8:9], v[74:75]
	v_fma_f64 v[24:25], v[6:7], -0.5, v[46:47]
	v_add_f64_e32 v[6:7], v[46:47], v[8:9]
	s_delay_alu instid0(VALU_DEP_1)
	v_add_f64_e32 v[8:9], v[6:7], v[74:75]
	v_add_f64_e32 v[6:7], v[14:15], v[22:23]
	v_fma_f64 v[14:15], v[26:27], s[0:1], v[16:17]
	v_fma_f64 v[22:23], v[26:27], s[8:9], v[16:17]
	;; [unrolled: 1-line block ×4, first 2 shown]
	scratch_load_b32 v2, off, off offset:1268 th:TH_LOAD_LU ; 4-byte Folded Reload
	s_wait_loadcnt 0x0
	ds_store_b128 v2, v[6:9]
	ds_store_b128 v2, v[14:17] offset:128
	ds_store_b128 v2, v[22:25] offset:256
	v_add_f64_e32 v[2:3], v[10:11], v[76:77]
	v_add_f64_e32 v[6:7], v[18:19], v[78:79]
	;; [unrolled: 1-line block ×3, first 2 shown]
	v_add_f64_e64 v[16:17], v[18:19], -v[78:79]
	v_add_f64_e64 v[10:11], v[10:11], -v[76:77]
	v_fma_f64 v[2:3], v[2:3], -0.5, v[48:49]
	v_fma_f64 v[24:25], v[6:7], -0.5, v[50:51]
	v_add_f64_e32 v[6:7], v[50:51], v[18:19]
	s_delay_alu instid0(VALU_DEP_3) | instskip(NEXT) | instid1(VALU_DEP_2)
	v_fma_f64 v[22:23], v[16:17], s[8:9], v[2:3]
	v_add_f64_e32 v[8:9], v[6:7], v[78:79]
	v_add_f64_e32 v[6:7], v[14:15], v[76:77]
	v_fma_f64 v[14:15], v[16:17], s[0:1], v[2:3]
	scratch_load_b32 v2, off, off offset:1264 th:TH_LOAD_LU ; 4-byte Folded Reload
	v_fma_f64 v[16:17], v[10:11], s[8:9], v[24:25]
	v_fma_f64 v[24:25], v[10:11], s[0:1], v[24:25]
	v_add_f64_e64 v[10:11], v[4:5], -v[20:21]
	s_wait_loadcnt 0x0
	ds_store_b128 v2, v[6:9]
	ds_store_b128 v2, v[14:17] offset:128
	ds_store_b128 v2, v[22:25] offset:256
	v_add_f64_e32 v[2:3], v[0:1], v[12:13]
	v_add_f64_e32 v[6:7], v[52:53], v[0:1]
	v_add_f64_e64 v[0:1], v[0:1], -v[12:13]
	s_delay_alu instid0(VALU_DEP_3) | instskip(SKIP_1) | instid1(VALU_DEP_1)
	v_fma_f64 v[8:9], v[2:3], -0.5, v[52:53]
	v_add_f64_e32 v[2:3], v[4:5], v[20:21]
	v_fma_f64 v[14:15], v[2:3], -0.5, v[54:55]
	v_add_f64_e32 v[2:3], v[54:55], v[4:5]
	s_delay_alu instid0(VALU_DEP_1)
	v_add_f64_e32 v[4:5], v[2:3], v[20:21]
	v_add_f64_e32 v[2:3], v[6:7], v[12:13]
	v_fma_f64 v[6:7], v[10:11], s[0:1], v[8:9]
	v_fma_f64 v[10:11], v[10:11], s[8:9], v[8:9]
	;; [unrolled: 1-line block ×4, first 2 shown]
	scratch_load_b32 v0, off, off offset:1260 th:TH_LOAD_LU ; 4-byte Folded Reload
	s_wait_loadcnt 0x0
	ds_store_b128 v0, v[2:5]
	ds_store_b128 v0, v[6:9] offset:128
	ds_store_b128 v0, v[10:13] offset:256
	v_add_f64_e32 v[0:1], v[80:81], v[84:85]
	v_add_f64_e32 v[4:5], v[56:57], v[80:81]
	v_add_f64_e64 v[8:9], v[82:83], -v[86:87]
	v_add_f64_e64 v[12:13], v[80:81], -v[84:85]
	s_delay_alu instid0(VALU_DEP_4) | instskip(SKIP_1) | instid1(VALU_DEP_1)
	v_fma_f64 v[6:7], v[0:1], -0.5, v[56:57]
	v_add_f64_e32 v[0:1], v[82:83], v[86:87]
	v_fma_f64 v[10:11], v[0:1], -0.5, v[58:59]
	v_add_f64_e32 v[0:1], v[58:59], v[82:83]
	s_delay_alu instid0(VALU_DEP_1)
	v_add_f64_e32 v[2:3], v[0:1], v[86:87]
	v_add_f64_e32 v[0:1], v[4:5], v[84:85]
	v_fma_f64 v[4:5], v[8:9], s[0:1], v[6:7]
	v_fma_f64 v[8:9], v[8:9], s[8:9], v[6:7]
	;; [unrolled: 1-line block ×4, first 2 shown]
	scratch_load_b32 v12, off, off offset:1256 th:TH_LOAD_LU ; 4-byte Folded Reload
	s_wait_loadcnt 0x0
	ds_store_b128 v12, v[0:3]
	ds_store_b128 v12, v[4:7] offset:128
	ds_store_b128 v12, v[8:11] offset:256
	v_add_f64_e32 v[0:1], v[88:89], v[92:93]
	v_add_f64_e32 v[4:5], v[60:61], v[88:89]
	v_add_f64_e64 v[8:9], v[90:91], -v[94:95]
	v_add_f64_e64 v[12:13], v[88:89], -v[92:93]
	s_delay_alu instid0(VALU_DEP_4) | instskip(SKIP_1) | instid1(VALU_DEP_1)
	v_fma_f64 v[6:7], v[0:1], -0.5, v[60:61]
	v_add_f64_e32 v[0:1], v[90:91], v[94:95]
	v_fma_f64 v[10:11], v[0:1], -0.5, v[62:63]
	v_add_f64_e32 v[0:1], v[62:63], v[90:91]
	s_delay_alu instid0(VALU_DEP_1)
	v_add_f64_e32 v[2:3], v[0:1], v[94:95]
	v_add_f64_e32 v[0:1], v[4:5], v[92:93]
	v_fma_f64 v[4:5], v[8:9], s[0:1], v[6:7]
	v_fma_f64 v[8:9], v[8:9], s[8:9], v[6:7]
	;; [unrolled: 1-line block ×4, first 2 shown]
	scratch_load_b32 v12, off, off offset:1252 th:TH_LOAD_LU ; 4-byte Folded Reload
	s_wait_loadcnt 0x0
	ds_store_b128 v12, v[0:3]
	ds_store_b128 v12, v[4:7] offset:128
	ds_store_b128 v12, v[8:11] offset:256
	global_wb scope:SCOPE_SE
	s_wait_dscnt 0x0
	s_barrier_signal -1
	s_barrier_wait -1
	global_inv scope:SCOPE_SE
	ds_load_b128 v[0:3], v96 offset:8064
	ds_load_b128 v[4:7], v96 offset:9072
	scratch_load_b128 v[10:13], off, off offset:1156 th:TH_LOAD_LU ; 16-byte Folded Reload
	s_wait_loadcnt_dscnt 0x1
	v_mul_f64_e32 v[8:9], v[12:13], v[2:3]
	s_delay_alu instid0(VALU_DEP_1) | instskip(SKIP_1) | instid1(VALU_DEP_1)
	v_fma_f64 v[28:29], v[10:11], v[0:1], v[8:9]
	v_mul_f64_e32 v[0:1], v[12:13], v[0:1]
	v_fma_f64 v[30:31], v[10:11], v[2:3], -v[0:1]
	ds_load_b128 v[0:3], v96 offset:16128
	ds_load_b128 v[8:11], v96 offset:17136
	scratch_load_b128 v[14:17], off, off offset:1012 th:TH_LOAD_LU ; 16-byte Folded Reload
	s_wait_loadcnt_dscnt 0x1
	v_mul_f64_e32 v[12:13], v[16:17], v[2:3]
	s_delay_alu instid0(VALU_DEP_1) | instskip(SKIP_1) | instid1(VALU_DEP_1)
	v_fma_f64 v[32:33], v[14:15], v[0:1], v[12:13]
	v_mul_f64_e32 v[0:1], v[16:17], v[0:1]
	v_fma_f64 v[34:35], v[14:15], v[2:3], -v[0:1]
	scratch_load_b128 v[12:15], off, off offset:1140 th:TH_LOAD_LU ; 16-byte Folded Reload
	s_wait_loadcnt 0x0
	v_mul_f64_e32 v[0:1], v[14:15], v[6:7]
	s_delay_alu instid0(VALU_DEP_1)
	v_fma_f64 v[56:57], v[12:13], v[4:5], v[0:1]
	v_mul_f64_e32 v[0:1], v[14:15], v[4:5]
	scratch_load_b128 v[2:5], off, off offset:1060 th:TH_LOAD_LU ; 16-byte Folded Reload
	v_fma_f64 v[58:59], v[12:13], v[6:7], -v[0:1]
	s_wait_loadcnt_dscnt 0x0
	v_mul_f64_e32 v[0:1], v[4:5], v[10:11]
	s_delay_alu instid0(VALU_DEP_1) | instskip(SKIP_1) | instid1(VALU_DEP_1)
	v_fma_f64 v[60:61], v[2:3], v[8:9], v[0:1]
	v_mul_f64_e32 v[0:1], v[4:5], v[8:9]
	v_fma_f64 v[62:63], v[2:3], v[10:11], -v[0:1]
	ds_load_b128 v[0:3], v96 offset:10080
	ds_load_b128 v[4:7], v96 offset:11088
	scratch_load_b128 v[10:13], off, off offset:1044 th:TH_LOAD_LU ; 16-byte Folded Reload
	s_wait_loadcnt_dscnt 0x1
	v_mul_f64_e32 v[8:9], v[12:13], v[2:3]
	s_delay_alu instid0(VALU_DEP_1) | instskip(SKIP_1) | instid1(VALU_DEP_1)
	v_fma_f64 v[64:65], v[10:11], v[0:1], v[8:9]
	v_mul_f64_e32 v[0:1], v[12:13], v[0:1]
	v_fma_f64 v[66:67], v[10:11], v[2:3], -v[0:1]
	ds_load_b128 v[0:3], v96 offset:18144
	ds_load_b128 v[8:11], v96 offset:19152
	scratch_load_b128 v[14:17], off, off offset:996 th:TH_LOAD_LU ; 16-byte Folded Reload
	s_wait_loadcnt_dscnt 0x1
	v_mul_f64_e32 v[12:13], v[16:17], v[2:3]
	s_delay_alu instid0(VALU_DEP_1) | instskip(SKIP_1) | instid1(VALU_DEP_1)
	v_fma_f64 v[68:69], v[14:15], v[0:1], v[12:13]
	v_mul_f64_e32 v[0:1], v[16:17], v[0:1]
	v_fma_f64 v[70:71], v[14:15], v[2:3], -v[0:1]
	scratch_load_b128 v[12:15], off, off offset:1092 th:TH_LOAD_LU ; 16-byte Folded Reload
	s_wait_loadcnt 0x0
	v_mul_f64_e32 v[0:1], v[14:15], v[6:7]
	s_delay_alu instid0(VALU_DEP_1)
	v_fma_f64 v[72:73], v[12:13], v[4:5], v[0:1]
	v_mul_f64_e32 v[0:1], v[14:15], v[4:5]
	scratch_load_b128 v[2:5], off, off offset:1076 th:TH_LOAD_LU ; 16-byte Folded Reload
	v_fma_f64 v[74:75], v[12:13], v[6:7], -v[0:1]
	s_wait_loadcnt_dscnt 0x0
	v_mul_f64_e32 v[0:1], v[4:5], v[10:11]
	s_delay_alu instid0(VALU_DEP_1) | instskip(SKIP_1) | instid1(VALU_DEP_1)
	v_fma_f64 v[76:77], v[2:3], v[8:9], v[0:1]
	v_mul_f64_e32 v[0:1], v[4:5], v[8:9]
	v_fma_f64 v[78:79], v[2:3], v[10:11], -v[0:1]
	ds_load_b128 v[0:3], v96 offset:12096
	ds_load_b128 v[4:7], v96 offset:13104
	scratch_load_b128 v[10:13], off, off offset:1108 th:TH_LOAD_LU ; 16-byte Folded Reload
	s_wait_loadcnt_dscnt 0x1
	v_mul_f64_e32 v[8:9], v[12:13], v[2:3]
	s_delay_alu instid0(VALU_DEP_1) | instskip(SKIP_1) | instid1(VALU_DEP_1)
	v_fma_f64 v[80:81], v[10:11], v[0:1], v[8:9]
	v_mul_f64_e32 v[0:1], v[12:13], v[0:1]
	v_fma_f64 v[82:83], v[10:11], v[2:3], -v[0:1]
	ds_load_b128 v[0:3], v96 offset:20160
	ds_load_b128 v[8:11], v96 offset:21168
	scratch_load_b128 v[14:17], off, off offset:1028 th:TH_LOAD_LU ; 16-byte Folded Reload
	s_wait_loadcnt_dscnt 0x1
	v_mul_f64_e32 v[12:13], v[16:17], v[2:3]
	s_delay_alu instid0(VALU_DEP_1) | instskip(SKIP_1) | instid1(VALU_DEP_1)
	v_fma_f64 v[84:85], v[14:15], v[0:1], v[12:13]
	v_mul_f64_e32 v[0:1], v[16:17], v[0:1]
	v_fma_f64 v[86:87], v[14:15], v[2:3], -v[0:1]
	scratch_load_b128 v[12:15], off, off offset:1188 th:TH_LOAD_LU ; 16-byte Folded Reload
	s_wait_loadcnt 0x0
	v_mul_f64_e32 v[0:1], v[14:15], v[6:7]
	v_mul_f64_e32 v[2:3], v[14:15], v[4:5]
	s_delay_alu instid0(VALU_DEP_2) | instskip(NEXT) | instid1(VALU_DEP_2)
	v_fma_f64 v[0:1], v[12:13], v[4:5], v[0:1]
	v_fma_f64 v[4:5], v[12:13], v[6:7], -v[2:3]
	scratch_load_b128 v[12:15], off, off offset:1172 th:TH_LOAD_LU ; 16-byte Folded Reload
	s_wait_loadcnt_dscnt 0x0
	v_mul_f64_e32 v[2:3], v[14:15], v[10:11]
	v_mul_f64_e32 v[6:7], v[14:15], v[8:9]
	s_delay_alu instid0(VALU_DEP_2) | instskip(NEXT) | instid1(VALU_DEP_2)
	v_fma_f64 v[2:3], v[12:13], v[8:9], v[2:3]
	v_fma_f64 v[6:7], v[12:13], v[10:11], -v[6:7]
	ds_load_b128 v[10:13], v96 offset:14112
	ds_load_b128 v[16:19], v96 offset:15120
	scratch_load_b128 v[20:23], off, off offset:1204 th:TH_LOAD_LU ; 16-byte Folded Reload
	s_wait_loadcnt_dscnt 0x1
	v_mul_f64_e32 v[8:9], v[22:23], v[12:13]
	s_delay_alu instid0(VALU_DEP_1) | instskip(SKIP_1) | instid1(VALU_DEP_1)
	v_fma_f64 v[8:9], v[20:21], v[10:11], v[8:9]
	v_mul_f64_e32 v[10:11], v[22:23], v[10:11]
	v_fma_f64 v[10:11], v[20:21], v[12:13], -v[10:11]
	ds_load_b128 v[20:23], v96 offset:22176
	ds_load_b128 v[24:27], v96 offset:23184
	scratch_load_b128 v[36:39], off, off offset:1124 th:TH_LOAD_LU ; 16-byte Folded Reload
	s_wait_loadcnt_dscnt 0x1
	v_mul_f64_e32 v[12:13], v[38:39], v[22:23]
	v_mul_f64_e32 v[14:15], v[38:39], v[20:21]
	s_delay_alu instid0(VALU_DEP_2) | instskip(NEXT) | instid1(VALU_DEP_2)
	v_fma_f64 v[12:13], v[36:37], v[20:21], v[12:13]
	v_fma_f64 v[88:89], v[36:37], v[22:23], -v[14:15]
	scratch_load_b128 v[20:23], off, off offset:1236 th:TH_LOAD_LU ; 16-byte Folded Reload
	s_wait_loadcnt 0x0
	v_mul_f64_e32 v[14:15], v[22:23], v[18:19]
	s_delay_alu instid0(VALU_DEP_1) | instskip(SKIP_1) | instid1(VALU_DEP_1)
	v_fma_f64 v[14:15], v[20:21], v[16:17], v[14:15]
	v_mul_f64_e32 v[16:17], v[22:23], v[16:17]
	v_fma_f64 v[90:91], v[20:21], v[18:19], -v[16:17]
	scratch_load_b128 v[18:21], off, off offset:1220 th:TH_LOAD_LU ; 16-byte Folded Reload
	s_wait_loadcnt_dscnt 0x0
	v_mul_f64_e32 v[16:17], v[20:21], v[26:27]
	s_delay_alu instid0(VALU_DEP_1) | instskip(SKIP_2) | instid1(VALU_DEP_2)
	v_fma_f64 v[92:93], v[18:19], v[24:25], v[16:17]
	v_mul_f64_e32 v[16:17], v[20:21], v[24:25]
	v_add_f64_e32 v[24:25], v[28:29], v[32:33]
	v_fma_f64 v[94:95], v[18:19], v[26:27], -v[16:17]
	ds_load_b128 v[16:19], v96
	ds_load_b128 v[20:23], v96 offset:1008
	s_wait_dscnt 0x1
	v_fma_f64 v[26:27], v[24:25], -0.5, v[16:17]
	v_add_f64_e32 v[24:25], v[30:31], v[34:35]
	v_add_f64_e32 v[16:17], v[16:17], v[28:29]
	s_delay_alu instid0(VALU_DEP_2) | instskip(SKIP_2) | instid1(VALU_DEP_4)
	v_fma_f64 v[36:37], v[24:25], -0.5, v[18:19]
	v_add_f64_e32 v[18:19], v[18:19], v[30:31]
	v_add_f64_e64 v[30:31], v[30:31], -v[34:35]
	v_add_f64_e32 v[16:17], v[16:17], v[32:33]
	v_add_f64_e64 v[32:33], v[28:29], -v[32:33]
	s_delay_alu instid0(VALU_DEP_4) | instskip(NEXT) | instid1(VALU_DEP_4)
	v_add_f64_e32 v[18:19], v[18:19], v[34:35]
	v_fma_f64 v[24:25], v[30:31], s[0:1], v[26:27]
	v_fma_f64 v[28:29], v[30:31], s[8:9], v[26:27]
	s_delay_alu instid0(VALU_DEP_4)
	v_fma_f64 v[26:27], v[32:33], s[8:9], v[36:37]
	v_fma_f64 v[30:31], v[32:33], s[0:1], v[36:37]
	ds_load_b128 v[32:35], v96 offset:2016
	ds_load_b128 v[36:39], v96 offset:3024
	;; [unrolled: 1-line block ×6, first 2 shown]
	global_wb scope:SCOPE_SE
	s_wait_dscnt 0x0
	s_barrier_signal -1
	s_barrier_wait -1
	global_inv scope:SCOPE_SE
	scratch_load_b32 v98, off, off offset:752 th:TH_LOAD_LU ; 4-byte Folded Reload
	s_wait_loadcnt 0x0
	ds_store_b128 v98, v[16:19]
	ds_store_b128 v98, v[24:27] offset:384
	ds_store_b128 v98, v[28:31] offset:768
	v_add_f64_e32 v[16:17], v[56:57], v[60:61]
	v_add_f64_e64 v[28:29], v[56:57], -v[60:61]
	v_add_f64_e32 v[30:31], v[48:49], v[8:9]
	s_delay_alu instid0(VALU_DEP_3) | instskip(SKIP_2) | instid1(VALU_DEP_2)
	v_fma_f64 v[24:25], v[16:17], -0.5, v[20:21]
	v_add_f64_e32 v[16:17], v[58:59], v[62:63]
	v_add_f64_e32 v[20:21], v[20:21], v[56:57]
	v_fma_f64 v[26:27], v[16:17], -0.5, v[22:23]
	v_add_f64_e32 v[16:17], v[22:23], v[58:59]
	v_add_f64_e64 v[22:23], v[58:59], -v[62:63]
	s_delay_alu instid0(VALU_DEP_2) | instskip(SKIP_1) | instid1(VALU_DEP_3)
	v_add_f64_e32 v[18:19], v[16:17], v[62:63]
	v_add_f64_e32 v[16:17], v[20:21], v[60:61]
	v_fma_f64 v[20:21], v[22:23], s[0:1], v[24:25]
	v_fma_f64 v[24:25], v[22:23], s[8:9], v[24:25]
	v_fma_f64 v[22:23], v[28:29], s[8:9], v[26:27]
	v_fma_f64 v[26:27], v[28:29], s[0:1], v[26:27]
	scratch_load_b32 v28, off, off offset:748 th:TH_LOAD_LU ; 4-byte Folded Reload
	s_wait_loadcnt 0x0
	ds_store_b128 v28, v[16:19]
	ds_store_b128 v28, v[20:23] offset:384
	ds_store_b128 v28, v[24:27] offset:768
	v_add_f64_e32 v[16:17], v[64:65], v[68:69]
	v_add_f64_e32 v[20:21], v[32:33], v[64:65]
	v_add_f64_e64 v[24:25], v[66:67], -v[70:71]
	v_add_f64_e64 v[28:29], v[64:65], -v[68:69]
	s_delay_alu instid0(VALU_DEP_4) | instskip(SKIP_2) | instid1(VALU_DEP_2)
	v_fma_f64 v[22:23], v[16:17], -0.5, v[32:33]
	v_add_f64_e32 v[16:17], v[66:67], v[70:71]
	v_add_f64_e32 v[32:33], v[14:15], v[92:93]
	v_fma_f64 v[26:27], v[16:17], -0.5, v[34:35]
	v_add_f64_e32 v[16:17], v[34:35], v[66:67]
	v_add_f64_e32 v[34:35], v[90:91], v[94:95]
	s_delay_alu instid0(VALU_DEP_4) | instskip(NEXT) | instid1(VALU_DEP_3)
	v_fma_f64 v[32:33], v[32:33], -0.5, v[52:53]
	v_add_f64_e32 v[18:19], v[16:17], v[70:71]
	v_add_f64_e32 v[16:17], v[20:21], v[68:69]
	v_fma_f64 v[20:21], v[24:25], s[0:1], v[22:23]
	v_fma_f64 v[24:25], v[24:25], s[8:9], v[22:23]
	;; [unrolled: 1-line block ×4, first 2 shown]
	scratch_load_b32 v28, off, off offset:744 th:TH_LOAD_LU ; 4-byte Folded Reload
	v_fma_f64 v[34:35], v[34:35], -0.5, v[54:55]
	s_wait_loadcnt 0x0
	ds_store_b128 v28, v[16:19]
	ds_store_b128 v28, v[20:23] offset:384
	ds_store_b128 v28, v[24:27] offset:768
	v_add_f64_e32 v[16:17], v[72:73], v[76:77]
	v_add_f64_e32 v[20:21], v[36:37], v[72:73]
	v_add_f64_e64 v[24:25], v[74:75], -v[78:79]
	v_add_f64_e64 v[28:29], v[72:73], -v[76:77]
	s_delay_alu instid0(VALU_DEP_4) | instskip(SKIP_2) | instid1(VALU_DEP_2)
	v_fma_f64 v[22:23], v[16:17], -0.5, v[36:37]
	v_add_f64_e32 v[16:17], v[74:75], v[78:79]
	v_add_f64_e32 v[36:37], v[54:55], v[90:91]
	v_fma_f64 v[26:27], v[16:17], -0.5, v[38:39]
	v_add_f64_e32 v[16:17], v[38:39], v[74:75]
	v_add_f64_e32 v[38:39], v[52:53], v[14:15]
	s_delay_alu instid0(VALU_DEP_2)
	v_add_f64_e32 v[18:19], v[16:17], v[78:79]
	v_add_f64_e32 v[16:17], v[20:21], v[76:77]
	v_fma_f64 v[20:21], v[24:25], s[0:1], v[22:23]
	v_fma_f64 v[24:25], v[24:25], s[8:9], v[22:23]
	;; [unrolled: 1-line block ×4, first 2 shown]
	scratch_load_b32 v28, off, off offset:708 th:TH_LOAD_LU ; 4-byte Folded Reload
	s_wait_loadcnt 0x0
	ds_store_b128 v28, v[16:19]
	ds_store_b128 v28, v[20:23] offset:384
	ds_store_b128 v28, v[24:27] offset:768
	v_add_f64_e32 v[16:17], v[80:81], v[84:85]
	v_add_f64_e32 v[20:21], v[40:41], v[80:81]
	v_add_f64_e64 v[24:25], v[82:83], -v[86:87]
	v_add_f64_e64 v[28:29], v[80:81], -v[84:85]
	s_delay_alu instid0(VALU_DEP_4) | instskip(SKIP_2) | instid1(VALU_DEP_2)
	v_fma_f64 v[22:23], v[16:17], -0.5, v[40:41]
	v_add_f64_e32 v[16:17], v[82:83], v[86:87]
	v_add_f64_e64 v[40:41], v[4:5], -v[6:7]
	v_fma_f64 v[26:27], v[16:17], -0.5, v[42:43]
	v_add_f64_e32 v[16:17], v[42:43], v[82:83]
	v_add_f64_e64 v[42:43], v[14:15], -v[92:93]
	s_delay_alu instid0(VALU_DEP_2)
	v_add_f64_e32 v[18:19], v[16:17], v[86:87]
	v_add_f64_e32 v[16:17], v[20:21], v[84:85]
	v_fma_f64 v[20:21], v[24:25], s[0:1], v[22:23]
	v_fma_f64 v[24:25], v[24:25], s[8:9], v[22:23]
	;; [unrolled: 1-line block ×4, first 2 shown]
	scratch_load_b32 v28, off, off offset:704 th:TH_LOAD_LU ; 4-byte Folded Reload
	s_wait_loadcnt 0x0
	ds_store_b128 v28, v[16:19]
	ds_store_b128 v28, v[20:23] offset:384
	ds_store_b128 v28, v[24:27] offset:768
	v_add_f64_e32 v[22:23], v[44:45], v[0:1]
	v_add_f64_e32 v[18:19], v[4:5], v[6:7]
	;; [unrolled: 1-line block ×8, first 2 shown]
	v_add_f64_e64 v[22:23], v[10:11], -v[88:89]
	v_add_f64_e32 v[10:11], v[36:37], v[94:95]
	scratch_load_b32 v36, off, off offset:700 th:TH_LOAD_LU ; 4-byte Folded Reload
	v_fma_f64 v[18:19], v[18:19], -0.5, v[46:47]
	v_fma_f64 v[16:17], v[16:17], -0.5, v[44:45]
	v_add_f64_e32 v[6:7], v[20:21], v[6:7]
	v_add_f64_e64 v[20:21], v[0:1], -v[2:3]
	v_add_f64_e32 v[2:3], v[28:29], v[88:89]
	v_add_f64_e32 v[0:1], v[30:31], v[12:13]
	v_add_f64_e64 v[28:29], v[8:9], -v[12:13]
	v_fma_f64 v[24:25], v[24:25], -0.5, v[48:49]
	v_fma_f64 v[26:27], v[26:27], -0.5, v[50:51]
	v_add_f64_e64 v[30:31], v[90:91], -v[94:95]
	v_add_f64_e32 v[8:9], v[38:39], v[92:93]
	v_fma_f64 v[12:13], v[40:41], s[0:1], v[16:17]
	v_fma_f64 v[16:17], v[40:41], s[8:9], v[16:17]
	;; [unrolled: 1-line block ×4, first 2 shown]
	s_wait_loadcnt 0x0
	ds_store_b128 v36, v[4:7]
	ds_store_b128 v36, v[12:15] offset:384
	ds_store_b128 v36, v[16:19] offset:768
	scratch_load_b32 v4, off, off offset:696 th:TH_LOAD_LU ; 4-byte Folded Reload
	v_fma_f64 v[20:21], v[22:23], s[0:1], v[24:25]
	v_fma_f64 v[24:25], v[22:23], s[8:9], v[24:25]
	;; [unrolled: 1-line block ×4, first 2 shown]
	s_wait_loadcnt 0x0
	ds_store_b128 v4, v[0:3]
	ds_store_b128 v4, v[20:23] offset:384
	ds_store_b128 v4, v[24:27] offset:768
	scratch_load_b32 v0, off, off offset:692 th:TH_LOAD_LU ; 4-byte Folded Reload
	v_fma_f64 v[28:29], v[30:31], s[0:1], v[32:33]
	v_fma_f64 v[32:33], v[30:31], s[8:9], v[32:33]
	;; [unrolled: 1-line block ×4, first 2 shown]
	s_wait_loadcnt 0x0
	ds_store_b128 v0, v[8:11]
	ds_store_b128 v0, v[28:31] offset:384
	ds_store_b128 v0, v[32:35] offset:768
	global_wb scope:SCOPE_SE
	s_wait_dscnt 0x0
	s_barrier_signal -1
	s_barrier_wait -1
	global_inv scope:SCOPE_SE
	ds_load_b128 v[0:3], v96 offset:8064
	ds_load_b128 v[4:7], v96 offset:16128
	;; [unrolled: 1-line block ×3, first 2 shown]
	s_clause 0x5
	scratch_load_b128 v[40:43], off, off offset:408 th:TH_LOAD_LU
	scratch_load_b128 v[44:47], off, off offset:392 th:TH_LOAD_LU
	;; [unrolled: 1-line block ×6, first 2 shown]
	ds_load_b128 v[16:19], v96 offset:10080
	s_clause 0x3
	scratch_load_b128 v[56:59], off, off offset:456 th:TH_LOAD_LU
	scratch_load_b128 v[60:63], off, off offset:472 th:TH_LOAD_LU
	;; [unrolled: 1-line block ×4, first 2 shown]
	ds_load_b128 v[12:15], v96 offset:17136
	ds_load_b128 v[20:23], v96 offset:18144
	s_clause 0x2
	scratch_load_b128 v[82:85], off, off offset:632 th:TH_LOAD_LU
	scratch_load_b128 v[86:89], off, off offset:616 th:TH_LOAD_LU
	;; [unrolled: 1-line block ×3, first 2 shown]
	s_wait_loadcnt_dscnt 0xc05
	v_mul_f64_e32 v[24:25], v[42:43], v[2:3]
	v_mul_f64_e32 v[26:27], v[42:43], v[0:1]
	s_wait_loadcnt_dscnt 0xa03
	v_mul_f64_e32 v[32:33], v[50:51], v[10:11]
	v_mul_f64_e32 v[34:35], v[50:51], v[8:9]
	;; [unrolled: 1-line block ×4, first 2 shown]
	s_wait_loadcnt_dscnt 0x901
	v_mul_f64_e32 v[36:37], v[54:55], v[14:15]
	v_mul_f64_e32 v[38:39], v[54:55], v[12:13]
	s_wait_loadcnt_dscnt 0x500
	v_mul_f64_e32 v[46:47], v[62:63], v[20:21]
	v_fma_f64 v[24:25], v[40:41], v[0:1], v[24:25]
	v_fma_f64 v[26:27], v[40:41], v[2:3], -v[26:27]
	ds_load_b128 v[0:3], v96 offset:11088
	v_fma_f64 v[32:33], v[48:49], v[8:9], v[32:33]
	v_fma_f64 v[34:35], v[48:49], v[10:11], -v[34:35]
	v_fma_f64 v[28:29], v[44:45], v[4:5], v[28:29]
	v_fma_f64 v[30:31], v[44:45], v[6:7], -v[30:31]
	ds_load_b128 v[4:7], v96 offset:19152
	v_mul_f64_e32 v[44:45], v[62:63], v[22:23]
	v_fma_f64 v[36:37], v[52:53], v[12:13], v[36:37]
	v_fma_f64 v[38:39], v[52:53], v[14:15], -v[38:39]
	ds_load_b128 v[12:15], v96 offset:20160
	v_fma_f64 v[46:47], v[60:61], v[22:23], -v[46:47]
	v_mul_f64_e32 v[40:41], v[58:59], v[18:19]
	v_mul_f64_e32 v[42:43], v[58:59], v[16:17]
	ds_load_b128 v[8:11], v96 offset:12096
	s_wait_dscnt 0x3
	v_mul_f64_e32 v[48:49], v[68:69], v[2:3]
	v_mul_f64_e32 v[50:51], v[68:69], v[0:1]
	scratch_load_b128 v[68:71], off, off offset:504 th:TH_LOAD_LU ; 16-byte Folded Reload
	s_wait_loadcnt_dscnt 0x501
	v_mul_f64_e32 v[62:63], v[78:79], v[12:13]
	v_add_f64_e64 v[138:139], v[26:27], -v[30:31]
	v_fma_f64 v[44:45], v[60:61], v[20:21], v[44:45]
	v_mul_f64_e32 v[60:61], v[78:79], v[14:15]
	ds_load_b128 v[20:23], v96 offset:21168
	v_add_f64_e64 v[140:141], v[32:33], -v[36:37]
	v_fma_f64 v[40:41], v[56:57], v[16:17], v[40:41]
	v_fma_f64 v[42:43], v[56:57], v[18:19], -v[42:43]
	ds_load_b128 v[16:19], v96 offset:13104
	s_wait_dscnt 0x2
	v_mul_f64_e32 v[56:57], v[74:75], v[10:11]
	v_mul_f64_e32 v[58:59], v[74:75], v[8:9]
	v_fma_f64 v[48:49], v[66:67], v[0:1], v[48:49]
	v_fma_f64 v[50:51], v[66:67], v[2:3], -v[50:51]
	ds_load_b128 v[0:3], v96 offset:14112
	v_fma_f64 v[62:63], v[76:77], v[14:15], -v[62:63]
	v_fma_f64 v[60:61], v[76:77], v[12:13], v[60:61]
	ds_load_b128 v[12:15], v96 offset:23184
	v_add_f64_e64 v[142:143], v[42:43], -v[46:47]
	v_fma_f64 v[56:57], v[72:73], v[8:9], v[56:57]
	v_fma_f64 v[58:59], v[72:73], v[10:11], -v[58:59]
	ds_load_b128 v[8:11], v96 offset:15120
	s_wait_loadcnt_dscnt 0x402
	v_mul_f64_e32 v[72:73], v[92:93], v[2:3]
	v_mul_f64_e32 v[74:75], v[92:93], v[0:1]
	v_add_f64_e32 v[92:93], v[42:43], v[46:47]
	s_delay_alu instid0(VALU_DEP_3) | instskip(NEXT) | instid1(VALU_DEP_3)
	v_fma_f64 v[72:73], v[90:91], v[0:1], v[72:73]
	v_fma_f64 v[74:75], v[90:91], v[2:3], -v[74:75]
	v_add_f64_e32 v[90:91], v[40:41], v[44:45]
	s_wait_loadcnt 0x0
	v_mul_f64_e32 v[52:53], v[70:71], v[6:7]
	v_mul_f64_e32 v[54:55], v[70:71], v[4:5]
	s_delay_alu instid0(VALU_DEP_2) | instskip(NEXT) | instid1(VALU_DEP_2)
	v_fma_f64 v[52:53], v[68:69], v[4:5], v[52:53]
	v_fma_f64 v[54:55], v[68:69], v[6:7], -v[54:55]
	ds_load_b128 v[4:7], v96 offset:22176
	s_wait_dscnt 0x0
	v_mul_f64_e32 v[76:77], v[102:103], v[6:7]
	v_mul_f64_e32 v[78:79], v[102:103], v[4:5]
	scratch_load_b128 v[102:105], off, off offset:584 th:TH_LOAD_LU ; 16-byte Folded Reload
	v_mul_f64_e32 v[64:65], v[84:85], v[18:19]
	v_mul_f64_e32 v[66:67], v[84:85], v[16:17]
	v_add_f64_e32 v[94:95], v[48:49], v[52:53]
	v_add_f64_e32 v[98:99], v[50:51], v[54:55]
	v_fma_f64 v[76:77], v[100:101], v[4:5], v[76:77]
	v_fma_f64 v[78:79], v[100:101], v[6:7], -v[78:79]
	v_add_f64_e32 v[100:101], v[56:57], v[60:61]
	v_fma_f64 v[64:65], v[82:83], v[16:17], v[64:65]
	v_fma_f64 v[66:67], v[82:83], v[18:19], -v[66:67]
	v_add_f64_e64 v[144:145], v[72:73], -v[76:77]
	s_wait_loadcnt 0x0
	v_mul_f64_e32 v[80:81], v[104:105], v[10:11]
	v_mul_f64_e32 v[16:17], v[104:105], v[8:9]
	scratch_load_b128 v[104:107], off, off offset:568 th:TH_LOAD_LU ; 16-byte Folded Reload
	v_mul_f64_e32 v[68:69], v[88:89], v[22:23]
	v_mul_f64_e32 v[70:71], v[88:89], v[20:21]
	ds_load_b128 v[0:3], v96
	ds_load_b128 v[4:7], v96 offset:1008
	v_add_f64_e32 v[88:89], v[34:35], v[38:39]
	v_fma_f64 v[80:81], v[102:103], v[8:9], v[80:81]
	v_fma_f64 v[102:103], v[102:103], v[10:11], -v[16:17]
	ds_load_b128 v[8:11], v96 offset:2016
	ds_load_b128 v[16:19], v96 offset:3024
	v_fma_f64 v[68:69], v[86:87], v[20:21], v[68:69]
	v_fma_f64 v[70:71], v[86:87], v[22:23], -v[70:71]
	v_add_f64_e32 v[20:21], v[24:25], v[28:29]
	v_add_f64_e32 v[86:87], v[32:33], v[36:37]
	;; [unrolled: 1-line block ×3, first 2 shown]
	s_wait_dscnt 0x2
	v_fma_f64 v[88:89], v[88:89], -0.5, v[6:7]
	s_wait_dscnt 0x1
	v_add_f64_e32 v[112:113], v[8:9], v[40:41]
	v_add_f64_e32 v[114:115], v[10:11], v[42:43]
	v_fma_f64 v[8:9], v[90:91], -0.5, v[8:9]
	s_wait_dscnt 0x0
	v_add_f64_e32 v[90:91], v[16:17], v[48:49]
	v_fma_f64 v[94:95], v[94:95], -0.5, v[16:17]
	v_fma_f64 v[10:11], v[92:93], -0.5, v[10:11]
	v_add_f64_e32 v[92:93], v[18:19], v[50:51]
	v_fma_f64 v[98:99], v[98:99], -0.5, v[18:19]
	v_fma_f64 v[108:109], v[20:21], -0.5, v[0:1]
	v_add_f64_e32 v[20:21], v[4:5], v[32:33]
	v_fma_f64 v[86:87], v[86:87], -0.5, v[4:5]
	v_add_f64_e32 v[4:5], v[58:59], v[62:63]
	;; [unrolled: 2-line block ×3, first 2 shown]
	v_add_f64_e32 v[16:17], v[20:21], v[36:37]
	v_add_f64_e32 v[20:21], v[112:113], v[44:45]
	v_add_f64_e64 v[112:113], v[40:41], -v[44:45]
	v_fma_f64 v[40:41], v[138:139], s[0:1], v[108:109]
	v_add_f64_e32 v[18:19], v[22:23], v[38:39]
	v_add_f64_e32 v[22:23], v[114:115], v[46:47]
	v_fma_f64 v[44:45], v[138:139], s[8:9], v[108:109]
	v_add_f64_e64 v[114:115], v[50:51], -v[54:55]
	v_fma_f64 v[50:51], v[140:141], s[8:9], v[88:89]
	s_wait_loadcnt 0x0
	v_mul_f64_e32 v[82:83], v[106:107], v[14:15]
	v_mul_f64_e32 v[84:85], v[106:107], v[12:13]
	v_add_f64_e32 v[106:107], v[2:3], v[26:27]
	v_add_f64_e32 v[26:27], v[92:93], v[54:55]
	v_fma_f64 v[54:55], v[140:141], s[0:1], v[88:89]
	v_add_f64_e64 v[92:93], v[58:59], -v[62:63]
	v_fma_f64 v[82:83], v[104:105], v[12:13], v[82:83]
	v_fma_f64 v[84:85], v[104:105], v[14:15], -v[84:85]
	ds_load_b128 v[12:15], v96 offset:4032
	v_add_f64_e32 v[104:105], v[0:1], v[24:25]
	ds_load_b128 v[0:3], v96 offset:5040
	s_wait_dscnt 0x1
	v_fma_f64 v[116:117], v[4:5], -0.5, v[14:15]
	v_add_f64_e32 v[4:5], v[64:65], v[68:69]
	v_fma_f64 v[100:101], v[100:101], -0.5, v[12:13]
	v_add_f64_e32 v[118:119], v[12:13], v[56:57]
	v_add_f64_e32 v[12:13], v[72:73], v[76:77]
	s_wait_dscnt 0x0
	v_add_f64_e32 v[126:127], v[0:1], v[64:65]
	v_add_f64_e32 v[128:129], v[2:3], v[66:67]
	;; [unrolled: 1-line block ×4, first 2 shown]
	v_add_f64_e64 v[106:107], v[34:35], -v[38:39]
	v_fma_f64 v[58:59], v[112:113], s[8:9], v[10:11]
	v_add_f64_e64 v[146:147], v[80:81], -v[82:83]
	v_fma_f64 v[122:123], v[4:5], -0.5, v[0:1]
	v_add_f64_e32 v[4:5], v[66:67], v[70:71]
	v_add_f64_e32 v[32:33], v[126:127], v[68:69]
	v_add_f64_e64 v[126:127], v[64:65], -v[68:69]
	v_add_f64_e32 v[30:31], v[120:121], v[62:63]
	v_fma_f64 v[62:63], v[112:113], s[0:1], v[10:11]
	v_add_f64_e64 v[120:121], v[66:67], -v[70:71]
	v_fma_f64 v[64:65], v[114:115], s[0:1], v[94:95]
	v_add_f64_e32 v[34:35], v[128:129], v[70:71]
	v_fma_f64 v[68:69], v[114:115], s[8:9], v[94:95]
	v_add_f64_e64 v[128:129], v[74:75], -v[78:79]
	v_fma_f64 v[124:125], v[4:5], -0.5, v[2:3]
	ds_load_b128 v[0:3], v96 offset:6048
	ds_load_b128 v[4:7], v96 offset:7056
	global_wb scope:SCOPE_SE
	s_wait_dscnt 0x0
	s_barrier_signal -1
	s_barrier_wait -1
	global_inv scope:SCOPE_SE
	v_fma_f64 v[130:131], v[12:13], -0.5, v[0:1]
	v_add_f64_e32 v[12:13], v[74:75], v[78:79]
	v_add_f64_e32 v[0:1], v[0:1], v[72:73]
	v_fma_f64 v[72:73], v[92:93], s[0:1], v[100:101]
	s_delay_alu instid0(VALU_DEP_4) | instskip(NEXT) | instid1(VALU_DEP_4)
	v_fma_f64 v[88:89], v[128:129], s[0:1], v[130:131]
	v_fma_f64 v[132:133], v[12:13], -0.5, v[2:3]
	v_add_f64_e32 v[12:13], v[80:81], v[82:83]
	v_add_f64_e32 v[2:3], v[2:3], v[74:75]
	;; [unrolled: 1-line block ×3, first 2 shown]
	v_fma_f64 v[76:77], v[92:93], s[8:9], v[100:101]
	v_fma_f64 v[92:93], v[128:129], s[8:9], v[130:131]
	;; [unrolled: 1-line block ×3, first 2 shown]
	v_fma_f64 v[134:135], v[12:13], -0.5, v[4:5]
	v_add_f64_e32 v[12:13], v[102:103], v[84:85]
	v_add_f64_e32 v[38:39], v[2:3], v[78:79]
	;; [unrolled: 1-line block ×3, first 2 shown]
	v_fma_f64 v[80:81], v[120:121], s[0:1], v[122:123]
	s_delay_alu instid0(VALU_DEP_4)
	v_fma_f64 v[136:137], v[12:13], -0.5, v[6:7]
	v_add_f64_e32 v[12:13], v[104:105], v[28:29]
	v_add_f64_e64 v[104:105], v[24:25], -v[28:29]
	v_add_f64_e32 v[24:25], v[90:91], v[52:53]
	v_add_f64_e64 v[90:91], v[48:49], -v[52:53]
	v_fma_f64 v[48:49], v[106:107], s[0:1], v[86:87]
	v_fma_f64 v[52:53], v[106:107], s[8:9], v[86:87]
	v_add_f64_e32 v[28:29], v[118:119], v[60:61]
	v_add_f64_e64 v[118:119], v[56:57], -v[60:61]
	v_fma_f64 v[56:57], v[142:143], s[0:1], v[8:9]
	v_fma_f64 v[60:61], v[142:143], s[8:9], v[8:9]
	v_add_f64_e32 v[6:7], v[6:7], v[102:103]
	v_add_f64_e32 v[0:1], v[4:5], v[82:83]
	v_fma_f64 v[82:83], v[126:127], s[8:9], v[124:125]
	v_add_f64_e64 v[102:103], v[102:103], -v[84:85]
	v_fma_f64 v[86:87], v[126:127], s[0:1], v[124:125]
	v_fma_f64 v[10:11], v[146:147], s[0:1], v[136:137]
	;; [unrolled: 1-line block ×4, first 2 shown]
	ds_store_b128 v96, v[12:15]
	ds_store_b128 v96, v[40:43] offset:1152
	ds_store_b128 v96, v[44:47] offset:2304
	scratch_load_b32 v12, off, off offset:664 th:TH_LOAD_LU ; 4-byte Folded Reload
	s_wait_loadcnt 0x0
	ds_store_b128 v12, v[16:19]
	ds_store_b128 v12, v[48:51] offset:1152
	ds_store_b128 v12, v[52:55] offset:2304
	scratch_load_b32 v12, off, off offset:668 th:TH_LOAD_LU ; 4-byte Folded Reload
	s_wait_loadcnt 0x0
	ds_store_b128 v12, v[20:23]
	ds_store_b128 v12, v[56:59] offset:1152
	ds_store_b128 v12, v[60:63] offset:2304
	scratch_load_b32 v12, off, off offset:672 th:TH_LOAD_LU ; 4-byte Folded Reload
	v_fma_f64 v[66:67], v[90:91], s[8:9], v[98:99]
	v_fma_f64 v[70:71], v[90:91], s[0:1], v[98:99]
	s_wait_loadcnt 0x0
	ds_store_b128 v12, v[24:27]
	ds_store_b128 v12, v[64:67] offset:1152
	ds_store_b128 v12, v[68:71] offset:2304
	scratch_load_b32 v12, off, off offset:676 th:TH_LOAD_LU ; 4-byte Folded Reload
	v_fma_f64 v[74:75], v[118:119], s[8:9], v[116:117]
	v_fma_f64 v[78:79], v[118:119], s[0:1], v[116:117]
	s_wait_loadcnt 0x0
	ds_store_b128 v12, v[28:31]
	ds_store_b128 v12, v[72:75] offset:1152
	ds_store_b128 v12, v[76:79] offset:2304
	scratch_load_b32 v12, off, off offset:680 th:TH_LOAD_LU ; 4-byte Folded Reload
	v_add_f64_e32 v[2:3], v[6:7], v[84:85]
	v_fma_f64 v[84:85], v[120:121], s[8:9], v[122:123]
	s_wait_loadcnt 0x0
	ds_store_b128 v12, v[32:35]
	ds_store_b128 v12, v[80:83] offset:1152
	ds_store_b128 v12, v[84:87] offset:2304
	scratch_load_b32 v12, off, off offset:684 th:TH_LOAD_LU ; 4-byte Folded Reload
	v_fma_f64 v[90:91], v[144:145], s[8:9], v[132:133]
	s_wait_loadcnt 0x0
	ds_store_b128 v12, v[36:39]
	ds_store_b128 v12, v[88:91] offset:1152
	ds_store_b128 v12, v[92:95] offset:2304
	scratch_load_b32 v12, off, off offset:688 th:TH_LOAD_LU ; 4-byte Folded Reload
	v_fma_f64 v[4:5], v[102:103], s[0:1], v[134:135]
	v_fma_f64 v[6:7], v[146:147], s[8:9], v[136:137]
	v_fma_f64 v[8:9], v[102:103], s[8:9], v[134:135]
	s_wait_loadcnt 0x0
	ds_store_b128 v12, v[0:3] offset:20736
	ds_store_b128 v12, v[4:7] offset:21888
	;; [unrolled: 1-line block ×3, first 2 shown]
	global_wb scope:SCOPE_SE
	s_wait_dscnt 0x0
	s_barrier_signal -1
	s_barrier_wait -1
	global_inv scope:SCOPE_SE
	ds_load_b128 v[12:15], v96
	ds_load_b128 v[16:19], v96 offset:1008
	ds_load_b128 v[84:87], v96 offset:6912
	ds_load_b128 v[64:67], v96 offset:7920
	ds_load_b128 v[40:43], v96 offset:13824
	ds_load_b128 v[32:35], v96 offset:14832
	ds_load_b128 v[76:79], v96 offset:20736
	ds_load_b128 v[68:71], v96 offset:21744
	ds_load_b128 v[88:91], v96 offset:3456
	ds_load_b128 v[20:23], v96 offset:2016
	ds_load_b128 v[80:83], v96 offset:4464
	ds_load_b128 v[56:59], v96 offset:5472
	ds_load_b128 v[44:47], v96 offset:10368
	ds_load_b128 v[52:55], v96 offset:8928
	ds_load_b128 v[36:39], v96 offset:11376
	ds_load_b128 v[28:31], v96 offset:12384
	ds_load_b128 v[92:95], v96 offset:17280
	ds_load_b128 v[24:27], v96 offset:15840
	ds_load_b128 v[72:75], v96 offset:18288
	ds_load_b128 v[48:51], v96 offset:19296
	ds_load_b128 v[60:63], v96 offset:22752
	s_and_saveexec_b32 s0, vcc_lo
	s_cbranch_execz .LBB0_7
; %bb.6:
	ds_load_b128 v[0:3], v96 offset:3024
	ds_load_b128 v[4:7], v96 offset:6480
	;; [unrolled: 1-line block ×7, first 2 shown]
.LBB0_7:
	s_wait_alu 0xfffe
	s_or_b32 exec_lo, exec_lo, s0
	s_clause 0x1
	scratch_load_b128 v[100:103], off, off offset:648 th:TH_LOAD_LU
	scratch_load_b128 v[112:115], off, off offset:712 th:TH_LOAD_LU
	s_mov_b32 s12, 0xe976ee23
	s_mov_b32 s10, 0x429ad128
	;; [unrolled: 1-line block ×11, first 2 shown]
	s_wait_alu 0xfffe
	s_mov_b32 s20, s18
	s_mov_b32 s14, 0x5476071b
	;; [unrolled: 1-line block ×4, first 2 shown]
	s_wait_alu 0xfffe
	s_mov_b32 s16, s14
	s_mov_b32 s22, 0xaaaaaaaa
	;; [unrolled: 1-line block ×5, first 2 shown]
	s_clause 0x2
	scratch_load_b128 v[116:119], off, off offset:728 th:TH_LOAD_LU
	scratch_load_b128 v[120:123], off, off offset:868 th:TH_LOAD_LU
	;; [unrolled: 1-line block ×3, first 2 shown]
	s_wait_loadcnt_dscnt 0x40c
	v_mul_f64_e32 v[98:99], v[102:103], v[90:91]
	s_wait_loadcnt_dscnt 0x303
	v_mul_f64_e32 v[110:111], v[114:115], v[26:27]
	s_delay_alu instid0(VALU_DEP_2) | instskip(SKIP_1) | instid1(VALU_DEP_1)
	v_fma_f64 v[98:99], v[100:101], v[88:89], v[98:99]
	v_mul_f64_e32 v[88:89], v[102:103], v[88:89]
	v_fma_f64 v[88:89], v[100:101], v[90:91], -v[88:89]
	scratch_load_b128 v[100:103], off, off offset:756 th:TH_LOAD_LU ; 16-byte Folded Reload
	s_wait_loadcnt 0x0
	v_mul_f64_e32 v[90:91], v[102:103], v[86:87]
	s_delay_alu instid0(VALU_DEP_1) | instskip(SKIP_1) | instid1(VALU_DEP_1)
	v_fma_f64 v[90:91], v[100:101], v[84:85], v[90:91]
	v_mul_f64_e32 v[84:85], v[102:103], v[84:85]
	v_fma_f64 v[84:85], v[100:101], v[86:87], -v[84:85]
	scratch_load_b128 v[100:103], off, off offset:772 th:TH_LOAD_LU ; 16-byte Folded Reload
	s_wait_loadcnt 0x0
	v_mul_f64_e32 v[86:87], v[102:103], v[94:95]
	s_delay_alu instid0(VALU_DEP_1) | instskip(SKIP_1) | instid1(VALU_DEP_1)
	v_fma_f64 v[86:87], v[100:101], v[92:93], v[86:87]
	v_mul_f64_e32 v[92:93], v[102:103], v[92:93]
	v_fma_f64 v[92:93], v[100:101], v[94:95], -v[92:93]
	scratch_load_b128 v[100:103], off, off offset:788 th:TH_LOAD_LU ; 16-byte Folded Reload
	s_wait_loadcnt 0x0
	v_mul_f64_e32 v[94:95], v[102:103], v[78:79]
	s_delay_alu instid0(VALU_DEP_1)
	v_fma_f64 v[94:95], v[100:101], v[76:77], v[94:95]
	v_mul_f64_e32 v[76:77], v[102:103], v[76:77]
	scratch_load_b128 v[102:105], off, off offset:804 th:TH_LOAD_LU ; 16-byte Folded Reload
	v_fma_f64 v[100:101], v[100:101], v[78:79], -v[76:77]
	s_wait_loadcnt 0x0
	v_mul_f64_e32 v[76:77], v[104:105], v[82:83]
	v_mul_f64_e32 v[78:79], v[104:105], v[80:81]
	s_delay_alu instid0(VALU_DEP_2) | instskip(NEXT) | instid1(VALU_DEP_2)
	v_fma_f64 v[76:77], v[102:103], v[80:81], v[76:77]
	v_fma_f64 v[78:79], v[102:103], v[82:83], -v[78:79]
	scratch_load_b128 v[102:105], off, off offset:820 th:TH_LOAD_LU ; 16-byte Folded Reload
	s_wait_loadcnt 0x0
	v_mul_f64_e32 v[80:81], v[104:105], v[66:67]
	s_delay_alu instid0(VALU_DEP_1) | instskip(SKIP_1) | instid1(VALU_DEP_1)
	v_fma_f64 v[80:81], v[102:103], v[64:65], v[80:81]
	v_mul_f64_e32 v[64:65], v[104:105], v[64:65]
	v_fma_f64 v[82:83], v[102:103], v[66:67], -v[64:65]
	scratch_load_b128 v[102:105], off, off offset:852 th:TH_LOAD_LU ; 16-byte Folded Reload
	s_wait_loadcnt 0x0
	v_mul_f64_e32 v[64:65], v[104:105], v[70:71]
	v_mul_f64_e32 v[66:67], v[104:105], v[68:69]
	s_delay_alu instid0(VALU_DEP_2) | instskip(NEXT) | instid1(VALU_DEP_2)
	v_fma_f64 v[64:65], v[102:103], v[68:69], v[64:65]
	v_fma_f64 v[66:67], v[102:103], v[70:71], -v[66:67]
	scratch_load_b128 v[102:105], off, off offset:836 th:TH_LOAD_LU ; 16-byte Folded Reload
	s_wait_loadcnt_dscnt 0x2
	v_mul_f64_e32 v[68:69], v[104:105], v[74:75]
	v_mul_f64_e32 v[70:71], v[104:105], v[72:73]
	s_delay_alu instid0(VALU_DEP_2) | instskip(NEXT) | instid1(VALU_DEP_2)
	v_fma_f64 v[68:69], v[102:103], v[72:73], v[68:69]
	v_fma_f64 v[70:71], v[102:103], v[74:75], -v[70:71]
	scratch_load_b128 v[102:105], off, off offset:900 th:TH_LOAD_LU ; 16-byte Folded Reload
	s_wait_loadcnt 0x0
	v_mul_f64_e32 v[72:73], v[104:105], v[58:59]
	s_delay_alu instid0(VALU_DEP_1) | instskip(SKIP_1) | instid1(VALU_DEP_1)
	v_fma_f64 v[72:73], v[102:103], v[56:57], v[72:73]
	v_mul_f64_e32 v[56:57], v[104:105], v[56:57]
	v_fma_f64 v[56:57], v[102:103], v[58:59], -v[56:57]
	scratch_load_b128 v[102:105], off, off offset:916 th:TH_LOAD_LU ; 16-byte Folded Reload
	s_wait_loadcnt 0x0
	v_mul_f64_e32 v[58:59], v[104:105], v[54:55]
	s_delay_alu instid0(VALU_DEP_1) | instskip(SKIP_1) | instid1(VALU_DEP_1)
	v_fma_f64 v[58:59], v[102:103], v[52:53], v[58:59]
	v_mul_f64_e32 v[52:53], v[104:105], v[52:53]
	v_fma_f64 v[52:53], v[102:103], v[54:55], -v[52:53]
	scratch_load_b128 v[102:105], off, off offset:948 th:TH_LOAD_LU ; 16-byte Folded Reload
	s_wait_loadcnt_dscnt 0x0
	v_mul_f64_e32 v[54:55], v[104:105], v[62:63]
	s_delay_alu instid0(VALU_DEP_1) | instskip(SKIP_1) | instid1(VALU_DEP_1)
	v_fma_f64 v[54:55], v[102:103], v[60:61], v[54:55]
	v_mul_f64_e32 v[60:61], v[104:105], v[60:61]
	v_fma_f64 v[60:61], v[102:103], v[62:63], -v[60:61]
	scratch_load_b128 v[102:105], off, off offset:932 th:TH_LOAD_LU ; 16-byte Folded Reload
	s_wait_loadcnt 0x0
	v_mul_f64_e32 v[62:63], v[104:105], v[50:51]
	s_delay_alu instid0(VALU_DEP_1) | instskip(SKIP_1) | instid1(VALU_DEP_1)
	v_fma_f64 v[62:63], v[102:103], v[48:49], v[62:63]
	v_mul_f64_e32 v[48:49], v[104:105], v[48:49]
	v_fma_f64 v[48:49], v[102:103], v[50:51], -v[48:49]
	scratch_load_b128 v[102:105], off, off offset:964 th:TH_LOAD_LU ; 16-byte Folded Reload
	s_wait_loadcnt 0x0
	v_mul_f64_e32 v[50:51], v[104:105], v[46:47]
	v_mul_f64_e32 v[74:75], v[104:105], v[44:45]
	;; [unrolled: 1-line block ×3, first 2 shown]
	s_delay_alu instid0(VALU_DEP_3) | instskip(NEXT) | instid1(VALU_DEP_3)
	v_fma_f64 v[44:45], v[102:103], v[44:45], v[50:51]
	v_fma_f64 v[46:47], v[102:103], v[46:47], -v[74:75]
	v_mul_f64_e32 v[102:103], v[122:123], v[38:39]
	scratch_load_b128 v[122:125], off, off offset:884 th:TH_LOAD_LU ; 16-byte Folded Reload
	v_mul_f64_e32 v[50:51], v[108:109], v[42:43]
	v_mul_f64_e32 v[74:75], v[108:109], v[40:41]
	;; [unrolled: 1-line block ×3, first 2 shown]
	v_fma_f64 v[38:39], v[120:121], v[38:39], -v[104:105]
	v_add_f64_e32 v[104:105], v[90:91], v[86:87]
	v_add_f64_e64 v[86:87], v[90:91], -v[86:87]
	v_fma_f64 v[36:37], v[120:121], v[36:37], v[102:103]
	v_mul_f64_e32 v[102:103], v[114:115], v[24:25]
	v_fma_f64 v[40:41], v[106:107], v[40:41], v[50:51]
	v_fma_f64 v[42:43], v[106:107], v[42:43], -v[74:75]
	v_mul_f64_e32 v[106:107], v[118:119], v[30:31]
	v_fma_f64 v[30:31], v[116:117], v[30:31], -v[108:109]
	v_fma_f64 v[24:25], v[112:113], v[24:25], v[110:111]
	v_add_f64_e32 v[108:109], v[76:77], v[64:65]
	v_add_f64_e32 v[110:111], v[78:79], v[66:67]
	;; [unrolled: 1-line block ×5, first 2 shown]
	v_add_f64_e64 v[48:49], v[52:53], -v[48:49]
	v_add_f64_e64 v[58:59], v[58:59], -v[62:63]
	;; [unrolled: 1-line block ×3, first 2 shown]
	v_fma_f64 v[26:27], v[112:113], v[26:27], -v[102:103]
	v_add_f64_e32 v[102:103], v[80:81], v[68:69]
	v_add_f64_e32 v[112:113], v[82:83], v[70:71]
	v_fma_f64 v[28:29], v[116:117], v[28:29], v[106:107]
	v_add_f64_e32 v[106:107], v[84:85], v[92:93]
	v_add_f64_e32 v[90:91], v[44:45], v[40:41]
	v_add_f64_e64 v[84:85], v[84:85], -v[92:93]
	v_add_f64_e32 v[92:93], v[46:47], v[42:43]
	v_add_f64_e64 v[40:41], v[40:41], -v[44:45]
	v_add_f64_e64 v[42:43], v[42:43], -v[46:47]
	;; [unrolled: 1-line block ×3, first 2 shown]
	v_add_f64_e32 v[116:117], v[56:57], v[60:61]
	v_add_f64_e64 v[46:47], v[88:89], -v[100:101]
	v_add_f64_e64 v[68:69], v[80:81], -v[68:69]
	;; [unrolled: 1-line block ×4, first 2 shown]
	v_add_f64_e32 v[80:81], v[30:31], v[26:27]
	v_add_f64_e64 v[26:27], v[26:27], -v[30:31]
	v_add_f64_e32 v[52:53], v[40:41], v[86:87]
	v_add_f64_e32 v[30:31], v[42:43], v[84:85]
	;; [unrolled: 1-line block ×3, first 2 shown]
	s_delay_alu instid0(VALU_DEP_2) | instskip(SKIP_4) | instid1(VALU_DEP_3)
	v_add_f64_e32 v[30:31], v[30:31], v[46:47]
	s_wait_loadcnt 0x0
	v_mul_f64_e32 v[74:75], v[124:125], v[32:33]
	v_mul_f64_e32 v[50:51], v[124:125], v[34:35]
	v_add_f64_e32 v[124:125], v[118:119], v[114:115]
	v_fma_f64 v[34:35], v[122:123], v[34:35], -v[74:75]
	v_add_f64_e32 v[74:75], v[88:89], v[100:101]
	s_delay_alu instid0(VALU_DEP_4)
	v_fma_f64 v[32:33], v[122:123], v[32:33], v[50:51]
	v_add_f64_e32 v[50:51], v[98:99], v[94:95]
	v_add_f64_e32 v[100:101], v[102:103], v[108:109]
	v_add_f64_e32 v[122:123], v[112:113], v[110:111]
	v_add_f64_e32 v[94:95], v[38:39], v[34:35]
	v_add_f64_e32 v[98:99], v[106:107], v[74:75]
	v_add_f64_e32 v[88:89], v[36:37], v[32:33]
	v_add_f64_e64 v[32:33], v[32:33], -v[36:37]
	v_add_f64_e32 v[82:83], v[104:105], v[50:51]
	v_add_f64_e64 v[34:35], v[34:35], -v[38:39]
	v_add_f64_e32 v[36:37], v[28:29], v[24:25]
	v_add_f64_e64 v[38:39], v[76:77], -v[64:65]
	v_add_f64_e64 v[64:65], v[78:79], -v[66:67]
	;; [unrolled: 1-line block ×11, first 2 shown]
	v_add_f64_e32 v[44:45], v[52:53], v[44:45]
	v_add_f64_e32 v[76:77], v[92:93], v[98:99]
	v_add_f64_e64 v[92:93], v[92:93], -v[106:107]
	v_add_f64_e32 v[78:79], v[88:89], v[100:101]
	v_add_f64_e32 v[72:73], v[90:91], v[82:83]
	;; [unrolled: 1-line block ×3, first 2 shown]
	v_add_f64_e64 v[100:101], v[42:43], -v[84:85]
	v_add_f64_e32 v[104:105], v[32:33], v[68:69]
	v_add_f64_e64 v[84:85], v[84:85], -v[46:47]
	v_add_f64_e64 v[122:123], v[108:109], -v[88:89]
	v_add_f64_e32 v[106:107], v[34:35], v[70:71]
	v_add_f64_e64 v[88:89], v[88:89], -v[102:103]
	v_add_f64_e64 v[42:43], v[46:47], -v[42:43]
	v_mul_f64_e32 v[28:29], s[12:13], v[28:29]
	v_add_f64_e64 v[52:53], v[34:35], -v[70:71]
	v_mul_f64_e32 v[46:47], s[10:11], v[86:87]
	v_add_f64_e64 v[70:71], v[70:71], -v[64:65]
	v_add_f64_e32 v[90:91], v[36:37], v[124:125]
	v_add_f64_e32 v[98:99], v[80:81], v[126:127]
	v_add_f64_e64 v[102:103], v[102:103], -v[108:109]
	v_add_f64_e64 v[108:109], v[112:113], -v[110:111]
	;; [unrolled: 1-line block ×10, first 2 shown]
	v_mul_f64_e32 v[60:61], s[8:9], v[60:61]
	v_mul_f64_e32 v[120:121], s[0:1], v[66:67]
	v_add_f64_e64 v[124:125], v[32:33], -v[68:69]
	v_mul_f64_e32 v[62:63], s[8:9], v[62:63]
	v_add_f64_e64 v[68:69], v[68:69], -v[38:39]
	v_add_f64_e64 v[32:33], v[38:39], -v[32:33]
	;; [unrolled: 1-line block ×3, first 2 shown]
	v_add_f64_e32 v[14:15], v[14:15], v[76:77]
	v_mul_f64_e32 v[126:127], s[0:1], v[92:93]
	v_add_f64_e32 v[16:17], v[16:17], v[78:79]
	v_add_f64_e32 v[12:13], v[12:13], v[72:73]
	;; [unrolled: 1-line block ×3, first 2 shown]
	v_mul_f64_e32 v[100:101], s[12:13], v[100:101]
	v_add_f64_e32 v[38:39], v[104:105], v[38:39]
	v_mul_f64_e32 v[104:105], s[10:11], v[84:85]
	v_mul_f64_e32 v[122:123], s[8:9], v[122:123]
	v_add_f64_e32 v[64:65], v[106:107], v[64:65]
	v_mul_f64_e32 v[106:107], s[0:1], v[88:89]
	v_fma_f64 v[86:87], v[86:87], s[10:11], -v[28:29]
	v_mul_f64_e32 v[52:53], s[12:13], v[52:53]
	v_fma_f64 v[28:29], v[40:41], s[18:19], v[28:29]
	v_fma_f64 v[40:41], v[40:41], s[20:21], -v[46:47]
	v_mul_f64_e32 v[46:47], s[10:11], v[70:71]
	v_add_f64_e32 v[20:21], v[20:21], v[90:91]
	v_add_f64_e32 v[22:23], v[22:23], v[98:99]
	v_mul_f64_e32 v[114:115], s[8:9], v[114:115]
	v_mul_f64_e32 v[116:117], s[8:9], v[116:117]
	v_fma_f64 v[66:67], v[66:67], s[0:1], v[60:61]
	v_fma_f64 v[120:121], v[50:51], s[14:15], -v[120:121]
	s_wait_alu 0xfffe
	v_fma_f64 v[50:51], v[50:51], s[16:17], -v[60:61]
	v_fma_f64 v[60:61], v[92:93], s[0:1], v[62:63]
	v_fma_f64 v[62:63], v[74:75], s[16:17], -v[62:63]
	v_fma_f64 v[76:77], v[76:77], s[22:23], v[14:15]
	v_fma_f64 v[92:93], v[74:75], s[14:15], -v[126:127]
	v_mul_f64_e32 v[74:75], s[12:13], v[124:125]
	v_mul_f64_e32 v[124:125], s[10:11], v[68:69]
	v_add_f64_e64 v[126:127], v[24:25], -v[58:59]
	v_fma_f64 v[84:85], v[84:85], s[10:11], -v[100:101]
	v_fma_f64 v[100:101], v[42:43], s[18:19], v[100:101]
	v_fma_f64 v[42:43], v[42:43], s[20:21], -v[104:105]
	v_fma_f64 v[88:89], v[88:89], s[0:1], v[122:123]
	v_mul_f64_e32 v[104:105], s[8:9], v[110:111]
	v_mul_f64_e32 v[110:111], s[0:1], v[94:95]
	v_fma_f64 v[106:107], v[102:103], s[14:15], -v[106:107]
	v_fma_f64 v[102:103], v[102:103], s[16:17], -v[122:123]
	v_add_f64_e64 v[122:123], v[58:59], -v[54:55]
	v_fma_f64 v[70:71], v[70:71], s[10:11], -v[52:53]
	v_fma_f64 v[52:53], v[34:35], s[18:19], v[52:53]
	v_fma_f64 v[34:35], v[34:35], s[20:21], -v[46:47]
	v_add_f64_e64 v[46:47], v[26:27], -v[48:49]
	v_add_f64_e32 v[58:59], v[24:25], v[58:59]
	v_add_f64_e64 v[24:25], v[54:55], -v[24:25]
	v_fma_f64 v[72:73], v[72:73], s[22:23], v[12:13]
	v_fma_f64 v[78:79], v[78:79], s[22:23], v[16:17]
	;; [unrolled: 1-line block ×6, first 2 shown]
	v_add_f64_e32 v[60:61], v[60:61], v[76:77]
	v_fma_f64 v[68:69], v[68:69], s[10:11], -v[74:75]
	v_fma_f64 v[74:75], v[32:33], s[18:19], v[74:75]
	v_fma_f64 v[32:33], v[32:33], s[20:21], -v[124:125]
	v_add_f64_e32 v[124:125], v[26:27], v[48:49]
	v_add_f64_e64 v[48:49], v[48:49], -v[56:57]
	v_add_f64_e64 v[26:27], v[56:57], -v[26:27]
	v_fma_f64 v[84:85], v[30:31], s[24:25], v[84:85]
	v_fma_f64 v[94:95], v[94:95], s[0:1], v[104:105]
	v_fma_f64 v[110:111], v[108:109], s[14:15], -v[110:111]
	v_fma_f64 v[104:105], v[108:109], s[16:17], -v[104:105]
	v_mul_f64_e32 v[108:109], s[12:13], v[126:127]
	v_mul_f64_e32 v[126:127], s[10:11], v[122:123]
	v_fma_f64 v[70:71], v[64:65], s[24:25], v[70:71]
	v_fma_f64 v[100:101], v[30:31], s[24:25], v[100:101]
	v_mul_f64_e32 v[46:47], s[12:13], v[46:47]
	v_add_f64_e32 v[54:55], v[58:59], v[54:55]
	v_add_f64_e32 v[66:67], v[66:67], v[72:73]
	;; [unrolled: 1-line block ×5, first 2 shown]
	v_fma_f64 v[68:69], v[38:39], s[24:25], v[68:69]
	v_fma_f64 v[74:75], v[38:39], s[24:25], v[74:75]
	v_add_f64_e32 v[56:57], v[124:125], v[56:57]
	v_mul_f64_e32 v[58:59], s[10:11], v[48:49]
	v_mul_f64_e32 v[124:125], s[0:1], v[36:37]
	v_fma_f64 v[36:37], v[36:37], s[0:1], v[114:115]
	v_add_f64_e32 v[94:95], v[94:95], v[82:83]
	v_add_f64_e32 v[104:105], v[104:105], v[82:83]
	v_fma_f64 v[122:123], v[122:123], s[10:11], -v[108:109]
	v_fma_f64 v[108:109], v[24:25], s[18:19], v[108:109]
	v_fma_f64 v[24:25], v[24:25], s[20:21], -v[126:127]
	v_mul_f64_e32 v[126:127], s[0:1], v[80:81]
	v_fma_f64 v[80:81], v[80:81], s[0:1], v[116:117]
	v_fma_f64 v[48:49], v[48:49], s[10:11], -v[46:47]
	v_fma_f64 v[46:47], v[26:27], s[18:19], v[46:47]
	v_add_f64_e32 v[82:83], v[110:111], v[82:83]
	v_fma_f64 v[26:27], v[26:27], s[20:21], -v[58:59]
	v_fma_f64 v[58:59], v[112:113], s[14:15], -v[124:125]
	;; [unrolled: 1-line block ×4, first 2 shown]
	v_fma_f64 v[110:111], v[54:55], s[24:25], v[122:123]
	v_fma_f64 v[106:107], v[54:55], s[24:25], v[108:109]
	v_fma_f64 v[122:123], v[54:55], s[24:25], v[24:25]
	v_fma_f64 v[116:117], v[118:119], s[14:15], -v[126:127]
	v_fma_f64 v[118:119], v[44:45], s[24:25], v[28:29]
	v_fma_f64 v[44:45], v[44:45], s[24:25], v[40:41]
	;; [unrolled: 1-line block ×3, first 2 shown]
	v_add_f64_e32 v[42:43], v[50:51], v[72:73]
	v_add_f64_e32 v[50:51], v[62:63], v[76:77]
	;; [unrolled: 1-line block ×4, first 2 shown]
	v_fma_f64 v[76:77], v[64:65], s[24:25], v[52:53]
	v_fma_f64 v[92:93], v[38:39], s[24:25], v[32:33]
	;; [unrolled: 1-line block ×4, first 2 shown]
	v_add_f64_e32 v[126:127], v[36:37], v[90:91]
	v_add_f64_e32 v[128:129], v[80:81], v[98:99]
	v_fma_f64 v[120:121], v[56:57], s[24:25], v[48:49]
	v_add_f64_e32 v[24:25], v[100:101], v[66:67]
	v_fma_f64 v[124:125], v[56:57], s[24:25], v[26:27]
	v_add_f64_e64 v[56:57], v[78:79], -v[70:71]
	v_add_f64_e32 v[112:113], v[112:113], v[90:91]
	v_add_f64_e32 v[114:115], v[114:115], v[98:99]
	;; [unrolled: 1-line block ×5, first 2 shown]
	v_add_f64_e64 v[26:27], v[60:61], -v[118:119]
	v_add_f64_e32 v[46:47], v[118:119], v[60:61]
	v_add_f64_e32 v[60:61], v[70:71], v[78:79]
	;; [unrolled: 1-line block ×3, first 2 shown]
	v_add_f64_e64 v[30:31], v[50:51], -v[44:45]
	v_add_f64_e32 v[36:37], v[84:85], v[62:63]
	v_add_f64_e64 v[38:39], v[72:73], -v[86:87]
	v_add_f64_e64 v[32:33], v[62:63], -v[84:85]
	;; [unrolled: 1-line block ×3, first 2 shown]
	v_add_f64_e32 v[52:53], v[64:65], v[102:103]
	v_add_f64_e64 v[62:63], v[82:83], -v[68:69]
	v_add_f64_e64 v[40:41], v[42:43], -v[40:41]
	v_add_f64_e32 v[42:43], v[44:45], v[50:51]
	v_add_f64_e64 v[44:45], v[66:67], -v[100:101]
	v_add_f64_e64 v[68:69], v[88:89], -v[76:77]
	v_add_f64_e32 v[70:71], v[74:75], v[94:95]
	v_add_f64_e32 v[48:49], v[76:77], v[88:89]
	v_add_f64_e64 v[50:51], v[94:95], -v[74:75]
	v_add_f64_e32 v[34:35], v[86:87], v[72:73]
	v_add_f64_e32 v[72:73], v[108:109], v[126:127]
	v_add_f64_e64 v[74:75], v[128:129], -v[106:107]
	v_add_f64_e64 v[64:65], v[102:103], -v[64:65]
	v_add_f64_e32 v[66:67], v[92:93], v[104:105]
	v_add_f64_e64 v[92:93], v[126:127], -v[108:109]
	v_add_f64_e32 v[94:95], v[106:107], v[128:129]
	v_add_f64_e32 v[76:77], v[124:125], v[112:113]
	v_add_f64_e64 v[78:79], v[114:115], -v[122:123]
	v_add_f64_e64 v[80:81], v[90:91], -v[120:121]
	v_add_f64_e32 v[84:85], v[120:121], v[90:91]
	v_add_f64_e64 v[88:89], v[112:113], -v[124:125]
	v_add_f64_e32 v[90:91], v[122:123], v[114:115]
	v_add_f64_e32 v[82:83], v[110:111], v[98:99]
	v_add_f64_e64 v[86:87], v[98:99], -v[110:111]
	ds_store_b128 v96, v[12:15]
	ds_store_b128 v96, v[16:19] offset:1008
	ds_store_b128 v96, v[28:31] offset:6912
	;; [unrolled: 1-line block ×20, first 2 shown]
	s_and_saveexec_b32 s26, vcc_lo
	s_cbranch_execz .LBB0_9
; %bb.8:
	s_clause 0x4
	scratch_load_b128 v[44:47], off, off offset:1696 th:TH_LOAD_LU
	scratch_load_b128 v[48:51], off, off offset:1712 th:TH_LOAD_LU
	scratch_load_b128 v[36:39], off, off offset:1664 th:TH_LOAD_LU
	scratch_load_b128 v[40:43], off, off offset:1680 th:TH_LOAD_LU
	scratch_load_b128 v[54:57], off, off offset:1744 th:TH_LOAD_LU
	s_wait_loadcnt 0x4
	v_mul_f64_e32 v[12:13], v[46:47], v[240:241]
	s_wait_loadcnt 0x3
	v_mul_f64_e32 v[16:17], v[50:51], v[236:237]
	v_mul_f64_e32 v[26:27], v[50:51], v[238:239]
	scratch_load_b128 v[50:53], off, off offset:1728 th:TH_LOAD_LU ; 16-byte Folded Reload
	s_wait_loadcnt 0x3
	v_mul_f64_e32 v[14:15], v[38:39], v[4:5]
	s_wait_loadcnt 0x2
	v_mul_f64_e32 v[18:19], v[42:43], v[8:9]
	v_mul_f64_e32 v[20:21], v[38:39], v[6:7]
	;; [unrolled: 1-line block ×4, first 2 shown]
	s_wait_loadcnt 0x1
	v_mul_f64_e32 v[28:29], v[56:57], v[234:235]
	v_mul_f64_e32 v[34:35], v[56:57], v[232:233]
	v_fma_f64 v[12:13], v[44:45], v[242:243], -v[12:13]
	v_fma_f64 v[6:7], v[36:37], v[6:7], -v[14:15]
	;; [unrolled: 1-line block ×4, first 2 shown]
	v_fma_f64 v[4:5], v[36:37], v[4:5], v[20:21]
	v_fma_f64 v[16:17], v[44:45], v[240:241], v[22:23]
	v_fma_f64 v[8:9], v[40:41], v[8:9], v[24:25]
	v_fma_f64 v[18:19], v[48:49], v[236:237], v[26:27]
	v_fma_f64 v[20:21], v[54:55], v[232:233], v[28:29]
	v_fma_f64 v[26:27], v[54:55], v[234:235], -v[34:35]
	v_add_f64_e32 v[28:29], v[6:7], v[12:13]
	v_add_f64_e64 v[6:7], v[6:7], -v[12:13]
	v_add_f64_e32 v[34:35], v[8:9], v[18:19]
	v_add_f64_e64 v[8:9], v[8:9], -v[18:19]
	s_wait_loadcnt 0x0
	v_mul_f64_e32 v[30:31], v[52:53], v[252:253]
	v_mul_f64_e32 v[32:33], v[52:53], v[250:251]
	s_delay_alu instid0(VALU_DEP_2) | instskip(NEXT) | instid1(VALU_DEP_2)
	v_fma_f64 v[22:23], v[50:51], v[250:251], v[30:31]
	v_fma_f64 v[24:25], v[50:51], v[252:253], -v[32:33]
	v_add_f64_e32 v[30:31], v[10:11], v[14:15]
	v_add_f64_e32 v[32:33], v[4:5], v[16:17]
	v_add_f64_e64 v[4:5], v[4:5], -v[16:17]
	v_add_f64_e64 v[10:11], v[10:11], -v[14:15]
	;; [unrolled: 1-line block ×3, first 2 shown]
	v_add_f64_e32 v[18:19], v[24:25], v[26:27]
	v_add_f64_e32 v[20:21], v[22:23], v[20:21]
	;; [unrolled: 1-line block ×3, first 2 shown]
	v_add_f64_e64 v[22:23], v[26:27], -v[24:25]
	v_add_f64_e32 v[12:13], v[34:35], v[32:33]
	v_add_f64_e64 v[38:39], v[8:9], -v[4:5]
	v_add_f64_e64 v[42:43], v[10:11], -v[6:7]
	;; [unrolled: 1-line block ×5, first 2 shown]
	v_add_f64_e32 v[16:17], v[18:19], v[16:17]
	v_add_f64_e64 v[18:19], v[18:19], -v[30:31]
	v_add_f64_e64 v[40:41], v[22:23], -v[10:11]
	v_add_f64_e32 v[12:13], v[20:21], v[12:13]
	v_add_f64_e64 v[20:21], v[20:21], -v[34:35]
	v_add_f64_e64 v[44:45], v[4:5], -v[36:37]
	v_add_f64_e32 v[8:9], v[36:37], v[8:9]
	v_add_f64_e32 v[10:11], v[22:23], v[10:11]
	v_mul_f64_e32 v[36:37], s[10:11], v[38:39]
	v_add_f64_e64 v[22:23], v[6:7], -v[22:23]
	v_add_f64_e64 v[28:29], v[30:31], -v[28:29]
	v_mul_f64_e32 v[46:47], s[10:11], v[42:43]
	v_add_f64_e64 v[32:33], v[34:35], -v[32:33]
	v_mul_f64_e32 v[14:15], s[12:13], v[14:15]
	v_mul_f64_e32 v[24:25], s[8:9], v[24:25]
	v_mul_f64_e32 v[26:27], s[8:9], v[26:27]
	v_add_f64_e32 v[2:3], v[2:3], v[16:17]
	v_mul_f64_e32 v[30:31], s[0:1], v[18:19]
	v_mul_f64_e32 v[40:41], s[12:13], v[40:41]
	v_add_f64_e32 v[0:1], v[0:1], v[12:13]
	v_mul_f64_e32 v[34:35], s[0:1], v[20:21]
	v_add_f64_e32 v[4:5], v[8:9], v[4:5]
	v_add_f64_e32 v[6:7], v[10:11], v[6:7]
	v_fma_f64 v[8:9], v[44:45], s[18:19], v[14:15]
	v_fma_f64 v[10:11], v[18:19], s[0:1], v[24:25]
	;; [unrolled: 1-line block ×3, first 2 shown]
	v_fma_f64 v[20:21], v[44:45], s[20:21], -v[36:37]
	v_fma_f64 v[16:17], v[16:17], s[22:23], v[2:3]
	v_fma_f64 v[24:25], v[28:29], s[16:17], -v[24:25]
	v_fma_f64 v[28:29], v[28:29], s[14:15], -v[30:31]
	v_fma_f64 v[30:31], v[22:23], s[18:19], v[40:41]
	v_fma_f64 v[12:13], v[12:13], s[22:23], v[0:1]
	v_fma_f64 v[22:23], v[22:23], s[20:21], -v[46:47]
	v_fma_f64 v[26:27], v[32:33], s[16:17], -v[26:27]
	;; [unrolled: 1-line block ×5, first 2 shown]
	v_fma_f64 v[8:9], v[4:5], s[24:25], v[8:9]
	v_fma_f64 v[20:21], v[4:5], s[24:25], v[20:21]
	v_add_f64_e32 v[34:35], v[10:11], v[16:17]
	v_add_f64_e32 v[24:25], v[24:25], v[16:17]
	;; [unrolled: 1-line block ×3, first 2 shown]
	v_fma_f64 v[28:29], v[6:7], s[24:25], v[30:31]
	v_add_f64_e32 v[38:39], v[18:19], v[12:13]
	v_fma_f64 v[30:31], v[6:7], s[24:25], v[22:23]
	v_add_f64_e32 v[40:41], v[26:27], v[12:13]
	v_fma_f64 v[4:5], v[4:5], s[24:25], v[14:15]
	v_fma_f64 v[36:37], v[6:7], s[24:25], v[36:37]
	v_add_f64_e32 v[12:13], v[32:33], v[12:13]
	v_add_f64_e64 v[26:27], v[34:35], -v[8:9]
	v_add_f64_e32 v[10:11], v[20:21], v[24:25]
	v_add_f64_e64 v[22:23], v[24:25], -v[20:21]
	v_add_f64_e32 v[6:7], v[8:9], v[34:35]
	v_add_f64_e32 v[24:25], v[28:29], v[38:39]
	;; [unrolled: 1-line block ×3, first 2 shown]
	v_add_f64_e64 v[14:15], v[16:17], -v[4:5]
	v_add_f64_e32 v[18:19], v[4:5], v[16:17]
	v_add_f64_e64 v[16:17], v[12:13], -v[36:37]
	v_add_f64_e32 v[12:13], v[36:37], v[12:13]
	v_add_f64_e64 v[8:9], v[40:41], -v[30:31]
	v_add_f64_e64 v[4:5], v[38:39], -v[28:29]
	ds_store_b128 v96, v[0:3] offset:3024
	ds_store_b128 v96, v[24:27] offset:6480
	;; [unrolled: 1-line block ×7, first 2 shown]
.LBB0_9:
	s_wait_alu 0xfffe
	s_or_b32 exec_lo, exec_lo, s26
	global_wb scope:SCOPE_SE
	s_wait_dscnt 0x0
	s_barrier_signal -1
	s_barrier_wait -1
	global_inv scope:SCOPE_SE
	ds_load_b128 v[0:3], v96
	ds_load_b128 v[4:7], v96 offset:12096
	ds_load_b128 v[8:11], v96 offset:1008
	;; [unrolled: 1-line block ×4, first 2 shown]
	s_clause 0x2
	scratch_load_b128 v[89:92], off, off offset:8 th:TH_LOAD_LU
	scratch_load_b64 v[20:21], off, off th:TH_LOAD_LU
	scratch_load_b128 v[104:107], off, off offset:200 th:TH_LOAD_LU
	v_mad_co_u64_u32 v[70:71], null, s4, v97, 0
	s_mov_b32 s8, 0x6b015ac0
	s_mov_b32 s9, 0x3f45ac05
	s_mul_u64 s[0:1], s[4:5], 0x2f40
	scratch_load_b128 v[98:101], off, off offset:184 th:TH_LOAD_LU ; 16-byte Folded Reload
	s_wait_loadcnt_dscnt 0x304
	v_mul_f64_e32 v[48:49], v[91:92], v[2:3]
	v_mul_f64_e32 v[50:51], v[91:92], v[0:1]
	scratch_load_b128 v[91:94], off, off offset:152 th:TH_LOAD_LU ; 16-byte Folded Reload
	s_wait_loadcnt_dscnt 0x201
	v_mul_f64_e32 v[60:61], v[106:107], v[14:15]
	v_mul_f64_e32 v[62:63], v[106:107], v[12:13]
	v_mov_b32_e32 v72, v20
	ds_load_b128 v[20:23], v96 offset:14112
	ds_load_b128 v[24:27], v96 offset:3024
	scratch_load_b128 v[106:109], off, off offset:216 th:TH_LOAD_LU ; 16-byte Folded Reload
	ds_load_b128 v[28:31], v96 offset:15120
	ds_load_b128 v[32:35], v96 offset:4032
	;; [unrolled: 1-line block ×5, first 2 shown]
	scratch_load_b128 v[116:119], off, off offset:344 th:TH_LOAD_LU ; 16-byte Folded Reload
	v_mad_co_u64_u32 v[64:65], null, s6, v72, 0
	s_wait_loadcnt 0x3
	v_mul_f64_e32 v[56:57], v[100:101], v[10:11]
	v_mul_f64_e32 v[58:59], v[100:101], v[8:9]
	s_clause 0x1
	scratch_load_b128 v[100:103], off, off offset:40 th:TH_LOAD_LU
	scratch_load_b128 v[110:113], off, off offset:312 th:TH_LOAD_LU
	v_fma_f64 v[48:49], v[89:90], v[0:1], v[48:49]
	v_fma_f64 v[50:51], v[89:90], v[2:3], -v[50:51]
	v_fma_f64 v[60:61], v[104:105], v[12:13], v[60:61]
	v_fma_f64 v[62:63], v[104:105], v[14:15], -v[62:63]
	;; [unrolled: 2-line block ×3, first 2 shown]
	s_wait_alu 0xfffe
	v_mul_f64_e32 v[10:11], s[8:9], v[50:51]
	s_wait_loadcnt 0x4
	v_mul_f64_e32 v[52:53], v[93:94], v[6:7]
	v_mul_f64_e32 v[54:55], v[93:94], v[4:5]
	s_wait_loadcnt_dscnt 0x307
	v_mul_f64_e32 v[66:67], v[108:109], v[18:19]
	v_mul_f64_e32 v[68:69], v[108:109], v[16:17]
	s_wait_loadcnt_dscnt 0x204
	v_mul_f64_e32 v[81:82], v[118:119], v[30:31]
	v_mul_f64_e32 v[83:84], v[118:119], v[28:29]
	scratch_load_b128 v[118:121], off, off offset:360 th:TH_LOAD_LU ; 16-byte Folded Reload
	s_wait_loadcnt 0x2
	v_mul_f64_e32 v[75:76], v[102:103], v[20:21]
	s_wait_loadcnt 0x1
	v_mul_f64_e32 v[77:78], v[112:113], v[26:27]
	v_mul_f64_e32 v[79:80], v[112:113], v[24:25]
	v_fma_f64 v[52:53], v[91:92], v[4:5], v[52:53]
	v_fma_f64 v[54:55], v[91:92], v[6:7], -v[54:55]
	ds_load_b128 v[0:3], v96 offset:6048
	ds_load_b128 v[4:7], v96 offset:7056
	scratch_load_b128 v[112:115], off, off offset:328 th:TH_LOAD_LU ; 16-byte Folded Reload
	v_mad_co_u64_u32 v[72:73], null, s7, v72, v[65:66]
	v_fma_f64 v[66:67], v[106:107], v[16:17], v[66:67]
	v_fma_f64 v[68:69], v[106:107], v[18:19], -v[68:69]
	scratch_load_b128 v[106:109], off, off offset:296 th:TH_LOAD_LU ; 16-byte Folded Reload
	v_mul_f64_e32 v[73:74], v[102:103], v[22:23]
	scratch_load_b128 v[102:105], off, off offset:280 th:TH_LOAD_LU ; 16-byte Folded Reload
	v_mul_f64_e32 v[16:17], s[8:9], v[56:57]
	v_mad_co_u64_u32 v[8:9], null, s5, v97, v[71:72]
	v_mov_b32_e32 v65, v72
	v_mul_f64_e32 v[18:19], s[8:9], v[58:59]
	s_movk_i32 s6, 0xd4b0
	s_mov_b32 s7, -1
	s_wait_alu 0xfffe
	s_mul_u64 s[4:5], s[4:5], s[6:7]
	s_delay_alu instid0(VALU_DEP_3) | instskip(SKIP_1) | instid1(VALU_DEP_2)
	v_mov_b32_e32 v71, v8
	v_lshlrev_b64_e32 v[8:9], 4, v[64:65]
	v_lshlrev_b64_e32 v[70:71], 4, v[70:71]
	s_delay_alu instid0(VALU_DEP_2) | instskip(SKIP_1) | instid1(VALU_DEP_3)
	v_add_co_u32 v95, vcc_lo, s2, v8
	s_wait_alu 0xfffd
	v_add_co_ci_u32_e32 v99, vcc_lo, s3, v9, vcc_lo
	v_mul_f64_e32 v[8:9], s[8:9], v[48:49]
	s_delay_alu instid0(VALU_DEP_3) | instskip(SKIP_1) | instid1(VALU_DEP_3)
	v_add_co_u32 v56, vcc_lo, v95, v70
	s_wait_alu 0xfffd
	v_add_co_ci_u32_e32 v57, vcc_lo, v99, v71, vcc_lo
	v_mul_f64_e32 v[12:13], s[8:9], v[52:53]
	v_mul_f64_e32 v[14:15], s[8:9], v[54:55]
	v_fma_f64 v[72:73], v[100:101], v[20:21], v[73:74]
	v_fma_f64 v[74:75], v[100:101], v[22:23], -v[75:76]
	v_fma_f64 v[76:77], v[110:111], v[24:25], v[77:78]
	v_fma_f64 v[78:79], v[110:111], v[26:27], -v[79:80]
	;; [unrolled: 2-line block ×3, first 2 shown]
	v_mul_f64_e32 v[20:21], s[8:9], v[60:61]
	v_mul_f64_e32 v[22:23], s[8:9], v[62:63]
	v_add_co_u32 v60, vcc_lo, v56, s0
	v_mul_f64_e32 v[24:25], s[8:9], v[66:67]
	v_mul_f64_e32 v[26:27], s[8:9], v[68:69]
	s_wait_alu 0xfffd
	v_add_co_ci_u32_e32 v61, vcc_lo, s1, v57, vcc_lo
	s_wait_alu 0xfffe
	v_add_co_u32 v66, vcc_lo, v60, s4
	s_wait_alu 0xfffd
	s_delay_alu instid0(VALU_DEP_2) | instskip(NEXT) | instid1(VALU_DEP_2)
	v_add_co_ci_u32_e32 v67, vcc_lo, s5, v61, vcc_lo
	v_add_co_u32 v70, vcc_lo, v66, s0
	s_wait_alu 0xfffd
	s_delay_alu instid0(VALU_DEP_2)
	v_add_co_ci_u32_e32 v71, vcc_lo, s1, v67, vcc_lo
	v_mul_f64_e32 v[28:29], s[8:9], v[72:73]
	v_mul_f64_e32 v[30:31], s[8:9], v[74:75]
	v_add_co_u32 v72, vcc_lo, v70, s4
	v_mul_f64_e32 v[48:49], s[8:9], v[80:81]
	v_mul_f64_e32 v[50:51], s[8:9], v[82:83]
	s_wait_alu 0xfffd
	v_add_co_ci_u32_e32 v73, vcc_lo, s5, v71, vcc_lo
	s_wait_loadcnt_dscnt 0x305
	v_mul_f64_e32 v[85:86], v[120:121], v[34:35]
	v_mul_f64_e32 v[87:88], v[120:121], v[32:33]
	s_wait_loadcnt_dscnt 0x103
	v_mul_f64_e32 v[89:90], v[108:109], v[42:43]
	v_mul_f64_e32 v[91:92], v[108:109], v[40:41]
	scratch_load_b128 v[108:111], off, off offset:376 th:TH_LOAD_LU ; 16-byte Folded Reload
	v_fma_f64 v[84:85], v[118:119], v[32:33], v[85:86]
	v_fma_f64 v[86:87], v[118:119], v[34:35], -v[87:88]
	v_mul_f64_e32 v[32:33], s[8:9], v[76:77]
	v_mul_f64_e32 v[34:35], s[8:9], v[78:79]
	s_clause 0x3
	global_store_b128 v[56:57], v[8:11], off
	global_store_b128 v[60:61], v[12:15], off
	;; [unrolled: 1-line block ×4, first 2 shown]
	ds_load_b128 v[8:11], v96 offset:18144
	v_add_co_u32 v12, vcc_lo, v72, s0
	s_wait_alu 0xfffd
	v_add_co_ci_u32_e32 v13, vcc_lo, s1, v73, vcc_lo
	global_store_b128 v[72:73], v[24:27], off
	v_add_co_u32 v14, vcc_lo, v12, s4
	s_wait_alu 0xfffd
	v_add_co_ci_u32_e32 v15, vcc_lo, s5, v13, vcc_lo
	s_wait_loadcnt 0x1
	v_mul_f64_e32 v[64:65], v[104:105], v[38:39]
	s_wait_dscnt 0x3
	v_mul_f64_e32 v[97:98], v[114:115], v[46:47]
	v_mul_f64_e32 v[58:59], v[114:115], v[44:45]
	v_add_co_u32 v16, vcc_lo, v14, s0
	s_wait_alu 0xfffd
	v_add_co_ci_u32_e32 v17, vcc_lo, s1, v15, vcc_lo
	v_mul_f64_e32 v[93:94], v[104:105], v[36:37]
	v_fma_f64 v[40:41], v[106:107], v[40:41], v[89:90]
	v_fma_f64 v[42:43], v[106:107], v[42:43], -v[91:92]
	v_mul_f64_e32 v[52:53], s[8:9], v[84:85]
	v_mul_f64_e32 v[54:55], s[8:9], v[86:87]
	v_fma_f64 v[56:57], v[102:103], v[36:37], v[64:65]
	v_add_co_u32 v36, vcc_lo, v16, s4
	v_fma_f64 v[64:65], v[112:113], v[44:45], v[97:98]
	v_fma_f64 v[58:59], v[112:113], v[46:47], -v[58:59]
	s_wait_alu 0xfffd
	v_add_co_ci_u32_e32 v37, vcc_lo, s5, v17, vcc_lo
	v_fma_f64 v[60:61], v[102:103], v[38:39], -v[93:94]
	v_add_co_u32 v76, vcc_lo, v36, s0
	s_wait_alu 0xfffd
	s_delay_alu instid0(VALU_DEP_3) | instskip(SKIP_1) | instid1(VALU_DEP_4)
	v_add_co_ci_u32_e32 v77, vcc_lo, s1, v37, vcc_lo
	v_mul_f64_e32 v[44:45], s[8:9], v[56:57]
	v_mul_f64_e32 v[46:47], s[8:9], v[60:61]
	s_wait_loadcnt_dscnt 0x2
	v_mul_f64_e32 v[62:63], v[110:111], v[2:3]
	v_mul_f64_e32 v[68:69], v[110:111], v[0:1]
	s_delay_alu instid0(VALU_DEP_2) | instskip(NEXT) | instid1(VALU_DEP_2)
	v_fma_f64 v[62:63], v[108:109], v[0:1], v[62:63]
	v_fma_f64 v[66:67], v[108:109], v[2:3], -v[68:69]
	ds_load_b128 v[0:3], v96 offset:19152
	global_store_b128 v[12:13], v[28:31], off
	global_store_b128 v[14:15], v[32:35], off
	;; [unrolled: 1-line block ×4, first 2 shown]
	s_clause 0x1
	scratch_load_b128 v[110:113], off, off offset:56 th:TH_LOAD_LU
	scratch_load_b128 v[106:109], off, off offset:24 th:TH_LOAD_LU
	ds_load_b128 v[16:19], v96 offset:8064
	ds_load_b128 v[20:23], v96 offset:20160
	;; [unrolled: 1-line block ×4, first 2 shown]
	v_mul_f64_e32 v[54:55], s[8:9], v[58:59]
	scratch_load_b128 v[130:133], off, off offset:248 th:TH_LOAD_LU ; 16-byte Folded Reload
	ds_load_b128 v[32:35], v96 offset:10080
	ds_load_b128 v[36:39], v96 offset:22176
	;; [unrolled: 1-line block ×3, first 2 shown]
	v_mul_f64_e32 v[12:13], s[8:9], v[40:41]
	v_mul_f64_e32 v[14:15], s[8:9], v[42:43]
	ds_load_b128 v[40:43], v96 offset:11088
	v_mul_f64_e32 v[52:53], s[8:9], v[64:65]
	scratch_load_b128 v[120:123], off, off offset:120 th:TH_LOAD_LU ; 16-byte Folded Reload
	v_mul_f64_e32 v[56:57], s[8:9], v[62:63]
	v_mul_f64_e32 v[58:59], s[8:9], v[66:67]
	s_wait_loadcnt_dscnt 0x309
	v_mul_f64_e32 v[68:69], v[112:113], v[10:11]
	v_mul_f64_e32 v[70:71], v[112:113], v[8:9]
	scratch_load_b128 v[112:115], off, off offset:72 th:TH_LOAD_LU ; 16-byte Folded Reload
	s_wait_loadcnt 0x3
	v_mul_f64_e32 v[72:73], v[108:109], v[6:7]
	v_mul_f64_e32 v[74:75], v[108:109], v[4:5]
	s_wait_loadcnt_dscnt 0x106
	v_mul_f64_e32 v[84:85], v[122:123], v[22:23]
	v_mul_f64_e32 v[86:87], v[122:123], v[20:21]
	scratch_load_b128 v[122:125], off, off offset:136 th:TH_LOAD_LU ; 16-byte Folded Reload
	v_fma_f64 v[8:9], v[110:111], v[8:9], v[68:69]
	v_fma_f64 v[10:11], v[110:111], v[10:11], -v[70:71]
	v_add_co_u32 v68, vcc_lo, v76, s4
	v_fma_f64 v[4:5], v[106:107], v[4:5], v[72:73]
	v_fma_f64 v[6:7], v[106:107], v[6:7], -v[74:75]
	s_wait_alu 0xfffd
	v_add_co_ci_u32_e32 v69, vcc_lo, s5, v77, vcc_lo
	v_add_co_u32 v70, vcc_lo, v68, s0
	s_wait_alu 0xfffd
	s_delay_alu instid0(VALU_DEP_2)
	v_add_co_ci_u32_e32 v71, vcc_lo, s1, v69, vcc_lo
	v_fma_f64 v[20:21], v[120:121], v[20:21], v[84:85]
	v_fma_f64 v[22:23], v[120:121], v[22:23], -v[86:87]
	v_mul_f64_e32 v[4:5], s[8:9], v[4:5]
	v_mul_f64_e32 v[6:7], s[8:9], v[6:7]
	s_wait_loadcnt 0x1
	v_mul_f64_e32 v[78:79], v[114:115], v[2:3]
	v_mul_f64_e32 v[80:81], v[114:115], v[0:1]
	scratch_load_b128 v[114:117], off, off offset:88 th:TH_LOAD_LU ; 16-byte Folded Reload
	s_wait_loadcnt_dscnt 0x104
	v_mul_f64_e32 v[66:67], v[124:125], v[30:31]
	v_mul_f64_e32 v[88:89], v[124:125], v[28:29]
	scratch_load_b128 v[124:127], off, off offset:168 th:TH_LOAD_LU ; 16-byte Folded Reload
	v_fma_f64 v[72:73], v[112:113], v[0:1], v[78:79]
	v_fma_f64 v[74:75], v[112:113], v[2:3], -v[80:81]
	v_add_co_u32 v78, vcc_lo, v70, s4
	s_wait_alu 0xfffd
	v_add_co_ci_u32_e32 v79, vcc_lo, s5, v71, vcc_lo
	v_mul_f64_e32 v[0:1], s[8:9], v[8:9]
	v_mul_f64_e32 v[2:3], s[8:9], v[10:11]
	v_fma_f64 v[28:29], v[122:123], v[28:29], v[66:67]
	v_fma_f64 v[30:31], v[122:123], v[30:31], -v[88:89]
	v_mul_f64_e32 v[8:9], s[8:9], v[72:73]
	v_mul_f64_e32 v[10:11], s[8:9], v[74:75]
	s_wait_loadcnt 0x1
	v_mul_f64_e32 v[60:61], v[116:117], v[18:19]
	v_mul_f64_e32 v[82:83], v[116:117], v[16:17]
	scratch_load_b128 v[116:119], off, off offset:104 th:TH_LOAD_LU ; 16-byte Folded Reload
	s_wait_loadcnt_dscnt 0x103
	v_mul_f64_e32 v[90:91], v[126:127], v[34:35]
	v_mul_f64_e32 v[92:93], v[126:127], v[32:33]
	scratch_load_b128 v[126:129], off, off offset:232 th:TH_LOAD_LU ; 16-byte Folded Reload
	s_wait_dscnt 0x2
	v_mul_f64_e32 v[94:95], v[132:133], v[38:39]
	v_mul_f64_e32 v[96:97], v[132:133], v[36:37]
	scratch_load_b128 v[132:135], off, off offset:264 th:TH_LOAD_LU ; 16-byte Folded Reload
	global_store_b128 v[76:77], v[12:15], off
	global_store_b128 v[68:69], v[44:47], off
	;; [unrolled: 1-line block ×4, first 2 shown]
	v_fma_f64 v[16:17], v[114:115], v[16:17], v[60:61]
	v_fma_f64 v[18:19], v[114:115], v[18:19], -v[82:83]
	v_fma_f64 v[32:33], v[124:125], v[32:33], v[90:91]
	v_fma_f64 v[34:35], v[124:125], v[34:35], -v[92:93]
	;; [unrolled: 2-line block ×3, first 2 shown]
	v_mul_f64_e32 v[12:13], s[8:9], v[16:17]
	v_mul_f64_e32 v[14:15], s[8:9], v[18:19]
	;; [unrolled: 1-line block ×4, first 2 shown]
	s_wait_loadcnt 0x2
	v_mul_f64_e32 v[62:63], v[118:119], v[26:27]
	v_mul_f64_e32 v[64:65], v[118:119], v[24:25]
	s_wait_loadcnt_dscnt 0x100
	v_mul_f64_e32 v[98:99], v[128:129], v[42:43]
	v_mul_f64_e32 v[100:101], v[128:129], v[40:41]
	s_wait_loadcnt 0x0
	v_mul_f64_e32 v[102:103], v[134:135], v[50:51]
	v_mul_f64_e32 v[104:105], v[134:135], v[48:49]
	v_fma_f64 v[24:25], v[116:117], v[24:25], v[62:63]
	v_fma_f64 v[26:27], v[116:117], v[26:27], -v[64:65]
	v_fma_f64 v[40:41], v[126:127], v[40:41], v[98:99]
	v_fma_f64 v[42:43], v[126:127], v[42:43], -v[100:101]
	;; [unrolled: 2-line block ×3, first 2 shown]
	v_add_co_u32 v48, vcc_lo, v78, s0
	s_wait_alu 0xfffd
	v_add_co_ci_u32_e32 v49, vcc_lo, s1, v79, vcc_lo
	s_delay_alu instid0(VALU_DEP_2) | instskip(SKIP_1) | instid1(VALU_DEP_2)
	v_add_co_u32 v50, vcc_lo, v48, s4
	s_wait_alu 0xfffd
	v_add_co_ci_u32_e32 v51, vcc_lo, s5, v49, vcc_lo
	global_store_b128 v[48:49], v[0:3], off
	v_add_co_u32 v52, vcc_lo, v50, s0
	s_wait_alu 0xfffd
	v_add_co_ci_u32_e32 v53, vcc_lo, s1, v51, vcc_lo
	global_store_b128 v[50:51], v[4:7], off
	v_add_co_u32 v54, vcc_lo, v52, s4
	s_wait_alu 0xfffd
	v_add_co_ci_u32_e32 v55, vcc_lo, s5, v53, vcc_lo
	v_mul_f64_e32 v[20:21], s[8:9], v[24:25]
	v_mul_f64_e32 v[22:23], s[8:9], v[26:27]
	;; [unrolled: 1-line block ×8, first 2 shown]
	global_store_b128 v[52:53], v[8:11], off
	global_store_b128 v[54:55], v[12:15], off
	v_mul_f64_e32 v[36:37], s[8:9], v[40:41]
	v_mul_f64_e32 v[38:39], s[8:9], v[42:43]
	;; [unrolled: 1-line block ×4, first 2 shown]
	v_add_co_u32 v44, vcc_lo, v54, s0
	s_wait_alu 0xfffd
	v_add_co_ci_u32_e32 v45, vcc_lo, s1, v55, vcc_lo
	s_delay_alu instid0(VALU_DEP_2) | instskip(SKIP_1) | instid1(VALU_DEP_2)
	v_add_co_u32 v0, vcc_lo, v44, s4
	s_wait_alu 0xfffd
	v_add_co_ci_u32_e32 v1, vcc_lo, s5, v45, vcc_lo
	global_store_b128 v[44:45], v[16:19], off
	v_add_co_u32 v2, vcc_lo, v0, s0
	s_wait_alu 0xfffd
	v_add_co_ci_u32_e32 v3, vcc_lo, s1, v1, vcc_lo
	s_delay_alu instid0(VALU_DEP_2) | instskip(SKIP_1) | instid1(VALU_DEP_2)
	v_add_co_u32 v4, vcc_lo, v2, s4
	s_wait_alu 0xfffd
	v_add_co_ci_u32_e32 v5, vcc_lo, s5, v3, vcc_lo
	global_store_b128 v[0:1], v[20:23], off
	v_add_co_u32 v6, vcc_lo, v4, s0
	s_wait_alu 0xfffd
	v_add_co_ci_u32_e32 v7, vcc_lo, s1, v5, vcc_lo
	s_delay_alu instid0(VALU_DEP_2) | instskip(SKIP_1) | instid1(VALU_DEP_2)
	v_add_co_u32 v8, vcc_lo, v6, s4
	s_wait_alu 0xfffd
	v_add_co_ci_u32_e32 v9, vcc_lo, s5, v7, vcc_lo
	s_delay_alu instid0(VALU_DEP_2) | instskip(SKIP_1) | instid1(VALU_DEP_2)
	v_add_co_u32 v0, vcc_lo, v8, s0
	s_wait_alu 0xfffd
	v_add_co_ci_u32_e32 v1, vcc_lo, s1, v9, vcc_lo
	global_store_b128 v[2:3], v[24:27], off
	global_store_b128 v[4:5], v[28:31], off
	;; [unrolled: 1-line block ×5, first 2 shown]
.LBB0_10:
	s_nop 0
	s_sendmsg sendmsg(MSG_DEALLOC_VGPRS)
	s_endpgm
	.section	.rodata,"a",@progbits
	.p2align	6, 0x0
	.amdhsa_kernel bluestein_single_back_len1512_dim1_dp_op_CI_CI
		.amdhsa_group_segment_fixed_size 24192
		.amdhsa_private_segment_fixed_size 1764
		.amdhsa_kernarg_size 104
		.amdhsa_user_sgpr_count 2
		.amdhsa_user_sgpr_dispatch_ptr 0
		.amdhsa_user_sgpr_queue_ptr 0
		.amdhsa_user_sgpr_kernarg_segment_ptr 1
		.amdhsa_user_sgpr_dispatch_id 0
		.amdhsa_user_sgpr_private_segment_size 0
		.amdhsa_wavefront_size32 1
		.amdhsa_uses_dynamic_stack 0
		.amdhsa_enable_private_segment 1
		.amdhsa_system_sgpr_workgroup_id_x 1
		.amdhsa_system_sgpr_workgroup_id_y 0
		.amdhsa_system_sgpr_workgroup_id_z 0
		.amdhsa_system_sgpr_workgroup_info 0
		.amdhsa_system_vgpr_workitem_id 0
		.amdhsa_next_free_vgpr 256
		.amdhsa_next_free_sgpr 28
		.amdhsa_reserve_vcc 1
		.amdhsa_float_round_mode_32 0
		.amdhsa_float_round_mode_16_64 0
		.amdhsa_float_denorm_mode_32 3
		.amdhsa_float_denorm_mode_16_64 3
		.amdhsa_fp16_overflow 0
		.amdhsa_workgroup_processor_mode 1
		.amdhsa_memory_ordered 1
		.amdhsa_forward_progress 0
		.amdhsa_round_robin_scheduling 0
		.amdhsa_exception_fp_ieee_invalid_op 0
		.amdhsa_exception_fp_denorm_src 0
		.amdhsa_exception_fp_ieee_div_zero 0
		.amdhsa_exception_fp_ieee_overflow 0
		.amdhsa_exception_fp_ieee_underflow 0
		.amdhsa_exception_fp_ieee_inexact 0
		.amdhsa_exception_int_div_zero 0
	.end_amdhsa_kernel
	.text
.Lfunc_end0:
	.size	bluestein_single_back_len1512_dim1_dp_op_CI_CI, .Lfunc_end0-bluestein_single_back_len1512_dim1_dp_op_CI_CI
                                        ; -- End function
	.section	.AMDGPU.csdata,"",@progbits
; Kernel info:
; codeLenInByte = 37828
; NumSgprs: 30
; NumVgprs: 256
; ScratchSize: 1764
; MemoryBound: 0
; FloatMode: 240
; IeeeMode: 1
; LDSByteSize: 24192 bytes/workgroup (compile time only)
; SGPRBlocks: 3
; VGPRBlocks: 31
; NumSGPRsForWavesPerEU: 30
; NumVGPRsForWavesPerEU: 256
; Occupancy: 3
; WaveLimiterHint : 1
; COMPUTE_PGM_RSRC2:SCRATCH_EN: 1
; COMPUTE_PGM_RSRC2:USER_SGPR: 2
; COMPUTE_PGM_RSRC2:TRAP_HANDLER: 0
; COMPUTE_PGM_RSRC2:TGID_X_EN: 1
; COMPUTE_PGM_RSRC2:TGID_Y_EN: 0
; COMPUTE_PGM_RSRC2:TGID_Z_EN: 0
; COMPUTE_PGM_RSRC2:TIDIG_COMP_CNT: 0
	.text
	.p2alignl 7, 3214868480
	.fill 96, 4, 3214868480
	.type	__hip_cuid_8e798c458c3fff20,@object ; @__hip_cuid_8e798c458c3fff20
	.section	.bss,"aw",@nobits
	.globl	__hip_cuid_8e798c458c3fff20
__hip_cuid_8e798c458c3fff20:
	.byte	0                               ; 0x0
	.size	__hip_cuid_8e798c458c3fff20, 1

	.ident	"AMD clang version 19.0.0git (https://github.com/RadeonOpenCompute/llvm-project roc-6.4.0 25133 c7fe45cf4b819c5991fe208aaa96edf142730f1d)"
	.section	".note.GNU-stack","",@progbits
	.addrsig
	.addrsig_sym __hip_cuid_8e798c458c3fff20
	.amdgpu_metadata
---
amdhsa.kernels:
  - .args:
      - .actual_access:  read_only
        .address_space:  global
        .offset:         0
        .size:           8
        .value_kind:     global_buffer
      - .actual_access:  read_only
        .address_space:  global
        .offset:         8
        .size:           8
        .value_kind:     global_buffer
      - .actual_access:  read_only
        .address_space:  global
        .offset:         16
        .size:           8
        .value_kind:     global_buffer
      - .actual_access:  read_only
        .address_space:  global
        .offset:         24
        .size:           8
        .value_kind:     global_buffer
      - .actual_access:  read_only
        .address_space:  global
        .offset:         32
        .size:           8
        .value_kind:     global_buffer
      - .offset:         40
        .size:           8
        .value_kind:     by_value
      - .address_space:  global
        .offset:         48
        .size:           8
        .value_kind:     global_buffer
      - .address_space:  global
        .offset:         56
        .size:           8
        .value_kind:     global_buffer
      - .address_space:  global
        .offset:         64
        .size:           8
        .value_kind:     global_buffer
      - .address_space:  global
        .offset:         72
        .size:           8
        .value_kind:     global_buffer
      - .offset:         80
        .size:           4
        .value_kind:     by_value
      - .address_space:  global
        .offset:         88
        .size:           8
        .value_kind:     global_buffer
      - .address_space:  global
        .offset:         96
        .size:           8
        .value_kind:     global_buffer
    .group_segment_fixed_size: 24192
    .kernarg_segment_align: 8
    .kernarg_segment_size: 104
    .language:       OpenCL C
    .language_version:
      - 2
      - 0
    .max_flat_workgroup_size: 63
    .name:           bluestein_single_back_len1512_dim1_dp_op_CI_CI
    .private_segment_fixed_size: 1764
    .sgpr_count:     30
    .sgpr_spill_count: 0
    .symbol:         bluestein_single_back_len1512_dim1_dp_op_CI_CI.kd
    .uniform_work_group_size: 1
    .uses_dynamic_stack: false
    .vgpr_count:     256
    .vgpr_spill_count: 440
    .wavefront_size: 32
    .workgroup_processor_mode: 1
amdhsa.target:   amdgcn-amd-amdhsa--gfx1201
amdhsa.version:
  - 1
  - 2
...

	.end_amdgpu_metadata
